;; amdgpu-corpus repo=ROCm/rocFFT kind=compiled arch=gfx906 opt=O3
	.text
	.amdgcn_target "amdgcn-amd-amdhsa--gfx906"
	.amdhsa_code_object_version 6
	.protected	bluestein_single_fwd_len85_dim1_half_op_CI_CI ; -- Begin function bluestein_single_fwd_len85_dim1_half_op_CI_CI
	.globl	bluestein_single_fwd_len85_dim1_half_op_CI_CI
	.p2align	8
	.type	bluestein_single_fwd_len85_dim1_half_op_CI_CI,@function
bluestein_single_fwd_len85_dim1_half_op_CI_CI: ; @bluestein_single_fwd_len85_dim1_half_op_CI_CI
; %bb.0:
	v_mul_u32_u24_e32 v1, 0xf10, v0
	s_load_dwordx4 s[0:3], s[4:5], 0x28
	v_lshrrev_b32_e32 v1, 16, v1
	v_mad_u64_u32 v[4:5], s[6:7], s6, 15, v[1:2]
	v_mov_b32_e32 v5, 0
	s_waitcnt lgkmcnt(0)
	v_cmp_gt_u64_e32 vcc, s[0:1], v[4:5]
	s_and_saveexec_b64 s[0:1], vcc
	s_cbranch_execz .LBB0_15
; %bb.1:
	s_mov_b32 s0, 0x88888889
	v_mul_hi_u32 v2, v4, s0
	s_load_dwordx2 s[6:7], s[4:5], 0x0
	s_load_dwordx2 s[12:13], s[4:5], 0x38
	v_mul_lo_u16_e32 v1, 17, v1
	v_sub_u16_e32 v25, v0, v1
	v_lshrrev_b32_e32 v2, 3, v2
	v_mul_lo_u32 v2, v2, 15
	v_cmp_gt_u16_e32 vcc, 5, v25
	v_lshlrev_b32_e32 v26, 2, v25
	v_or_b32_e32 v27, 40, v25
	v_sub_u32_e32 v0, v4, v2
	v_mul_u32_u24_e32 v28, 0x55, v0
	v_lshlrev_b32_e32 v29, 2, v28
	s_and_saveexec_b64 s[14:15], vcc
	s_cbranch_execz .LBB0_3
; %bb.2:
	s_load_dwordx2 s[0:1], s[4:5], 0x18
	v_lshl_add_u32 v22, v25, 2, v29
	v_add_u32_e32 v23, v29, v26
	s_waitcnt lgkmcnt(0)
	s_load_dwordx4 s[8:11], s[0:1], 0x0
	s_waitcnt lgkmcnt(0)
	v_mad_u64_u32 v[0:1], s[0:1], s10, v4, 0
	v_mad_u64_u32 v[2:3], s[0:1], s8, v25, 0
	;; [unrolled: 1-line block ×4, first 2 shown]
	v_mov_b32_e32 v1, v5
	v_lshlrev_b64 v[0:1], 2, v[0:1]
	v_mov_b32_e32 v3, v6
	v_mov_b32_e32 v7, s3
	v_lshlrev_b64 v[2:3], 2, v[2:3]
	v_add_co_u32_e64 v8, s[0:1], s2, v0
	v_addc_co_u32_e64 v7, s[0:1], v7, v1, s[0:1]
	v_add_co_u32_e64 v0, s[0:1], v8, v2
	v_addc_co_u32_e64 v1, s[0:1], v7, v3, s[0:1]
	s_mul_i32 s0, s9, 20
	s_mul_hi_u32 s2, s8, 20
	s_add_i32 s2, s2, s0
	s_mul_i32 s3, s8, 20
	v_mov_b32_e32 v3, s2
	v_add_co_u32_e64 v2, s[0:1], s3, v0
	v_addc_co_u32_e64 v3, s[0:1], v1, v3, s[0:1]
	v_mov_b32_e32 v5, s2
	global_load_dword v9, v[0:1], off
	global_load_dword v10, v26, s[6:7]
	global_load_dword v11, v[2:3], off
	global_load_dword v12, v26, s[6:7] offset:20
	v_add_co_u32_e64 v0, s[0:1], s3, v2
	v_addc_co_u32_e64 v1, s[0:1], v3, v5, s[0:1]
	global_load_dword v13, v[0:1], off
	global_load_dword v14, v26, s[6:7] offset:40
	v_mov_b32_e32 v2, s2
	v_add_co_u32_e64 v0, s[0:1], s3, v0
	v_addc_co_u32_e64 v1, s[0:1], v1, v2, s[0:1]
	global_load_dword v15, v[0:1], off
	global_load_dword v16, v26, s[6:7] offset:60
	v_add_co_u32_e64 v0, s[0:1], s3, v0
	v_addc_co_u32_e64 v1, s[0:1], v1, v2, s[0:1]
	v_mad_u64_u32 v[2:3], s[0:1], s8, v27, 0
	global_load_dword v17, v[0:1], off
	v_mov_b32_e32 v24, s2
	v_mad_u64_u32 v[5:6], s[0:1], s9, v27, v[3:4]
	v_mov_b32_e32 v6, s2
	global_load_dword v18, v26, s[6:7] offset:80
	global_load_dword v19, v26, s[6:7] offset:100
	;; [unrolled: 1-line block ×4, first 2 shown]
	v_mov_b32_e32 v3, v5
	v_lshlrev_b64 v[2:3], 2, v[2:3]
	v_add_co_u32_e64 v2, s[0:1], v8, v2
	v_addc_co_u32_e64 v3, s[0:1], v7, v3, s[0:1]
	v_add_co_u32_e64 v0, s[0:1], s3, v0
	v_addc_co_u32_e64 v1, s[0:1], v1, v6, s[0:1]
	;; [unrolled: 2-line block ×3, first 2 shown]
	global_load_dword v24, v[0:1], off
	s_waitcnt vmcnt(13)
	v_lshrrev_b32_e32 v0, 16, v9
	s_waitcnt vmcnt(12)
	v_mul_f16_sdwa v1, v10, v9 dst_sel:DWORD dst_unused:UNUSED_PAD src0_sel:WORD_1 src1_sel:DWORD
	v_fma_f16 v1, v10, v0, -v1
	v_mul_f16_sdwa v0, v10, v0 dst_sel:DWORD dst_unused:UNUSED_PAD src0_sel:WORD_1 src1_sel:DWORD
	s_waitcnt vmcnt(11)
	v_lshrrev_b32_e32 v30, 16, v11
	s_waitcnt vmcnt(10)
	v_mul_f16_sdwa v31, v12, v11 dst_sel:DWORD dst_unused:UNUSED_PAD src0_sel:WORD_1 src1_sel:DWORD
	v_fma_f16 v0, v10, v9, v0
	v_fma_f16 v9, v12, v30, -v31
	v_mul_f16_sdwa v10, v12, v30 dst_sel:DWORD dst_unused:UNUSED_PAD src0_sel:WORD_1 src1_sel:DWORD
	s_waitcnt vmcnt(9)
	v_lshrrev_b32_e32 v30, 16, v13
	s_waitcnt vmcnt(8)
	v_mul_f16_sdwa v31, v14, v13 dst_sel:DWORD dst_unused:UNUSED_PAD src0_sel:WORD_1 src1_sel:DWORD
	v_fma_f16 v10, v12, v11, v10
	v_pack_b32_f16 v0, v0, v1
	v_mul_f16_sdwa v11, v14, v30 dst_sel:DWORD dst_unused:UNUSED_PAD src0_sel:WORD_1 src1_sel:DWORD
	v_fma_f16 v1, v14, v30, -v31
	ds_write_b32 v22, v0
	v_fma_f16 v0, v14, v13, v11
	v_pack_b32_f16 v9, v10, v9
	v_pack_b32_f16 v0, v0, v1
	ds_write2_b32 v23, v9, v0 offset0:5 offset1:10
	v_mov_b32_e32 v1, s2
	v_add_co_u32_e64 v0, s[0:1], s3, v5
	v_addc_co_u32_e64 v1, s[0:1], v6, v1, s[0:1]
	global_load_dword v9, v[5:6], off
	v_mad_u64_u32 v[5:6], s[0:1], s8, 40, v[0:1]
	global_load_dword v13, v[2:3], off
	global_load_dword v14, v[0:1], off
	s_waitcnt vmcnt(10)
	v_lshrrev_b32_e32 v12, 16, v15
	v_mov_b32_e32 v0, v6
	v_mad_u64_u32 v[0:1], s[0:1], s9, 40, v[0:1]
	s_waitcnt vmcnt(9)
	v_mul_f16_sdwa v30, v16, v15 dst_sel:DWORD dst_unused:UNUSED_PAD src0_sel:WORD_1 src1_sel:DWORD
	v_fma_f16 v11, v16, v12, -v30
	v_mul_f16_sdwa v12, v16, v12 dst_sel:DWORD dst_unused:UNUSED_PAD src0_sel:WORD_1 src1_sel:DWORD
	v_mov_b32_e32 v6, v0
	v_mov_b32_e32 v1, s2
	v_add_co_u32_e64 v0, s[0:1], s3, v5
	v_fma_f16 v10, v16, v15, v12
	global_load_dword v15, v26, s[6:7] offset:160
	global_load_dword v16, v26, s[6:7] offset:180
	global_load_dword v22, v26, s[6:7] offset:200
	global_load_dword v30, v26, s[6:7] offset:220
	global_load_dword v31, v26, s[6:7] offset:240
	global_load_dword v32, v26, s[6:7] offset:260
	global_load_dword v33, v26, s[6:7] offset:280
	global_load_dword v34, v26, s[6:7] offset:300
	global_load_dword v35, v[5:6], off
	v_addc_co_u32_e64 v1, s[0:1], v6, v1, s[0:1]
	global_load_dword v36, v[0:1], off
	v_or_b32_e32 v6, 0x50, v25
	v_mad_u64_u32 v[2:3], s[0:1], s8, v6, 0
	v_mov_b32_e32 v5, s2
	v_add_co_u32_e64 v0, s[0:1], s3, v0
	v_addc_co_u32_e64 v1, s[0:1], v1, v5, s[0:1]
	global_load_dword v37, v[0:1], off
	v_add_co_u32_e64 v0, s[0:1], s3, v0
	v_addc_co_u32_e64 v1, s[0:1], v1, v5, s[0:1]
	global_load_dword v38, v[0:1], off
	v_mad_u64_u32 v[5:6], s[0:1], s9, v6, v[3:4]
	v_mov_b32_e32 v3, s2
	v_add_co_u32_e64 v0, s[0:1], s3, v0
	v_addc_co_u32_e64 v1, s[0:1], v1, v3, s[0:1]
	global_load_dword v6, v[0:1], off
	v_add_co_u32_e64 v0, s[0:1], s3, v0
	v_addc_co_u32_e64 v1, s[0:1], v1, v3, s[0:1]
	global_load_dword v39, v[0:1], off
	v_mov_b32_e32 v3, v5
	v_mov_b32_e32 v5, s2
	v_add_co_u32_e64 v0, s[0:1], s3, v0
	v_addc_co_u32_e64 v1, s[0:1], v1, v5, s[0:1]
	global_load_dword v5, v[0:1], off
	v_lshlrev_b64 v[0:1], 2, v[2:3]
	s_waitcnt vmcnt(23)
	v_lshrrev_b32_e32 v12, 16, v17
	v_add_co_u32_e64 v0, s[0:1], v8, v0
	v_addc_co_u32_e64 v1, s[0:1], v7, v1, s[0:1]
	global_load_dword v2, v[0:1], off
	global_load_dword v3, v26, s[6:7] offset:320
	s_waitcnt vmcnt(24)
	v_mul_f16_sdwa v0, v18, v17 dst_sel:DWORD dst_unused:UNUSED_PAD src0_sel:WORD_1 src1_sel:DWORD
	v_mul_f16_sdwa v1, v18, v12 dst_sel:DWORD dst_unused:UNUSED_PAD src0_sel:WORD_1 src1_sel:DWORD
	v_fma_f16 v0, v18, v12, -v0
	v_fma_f16 v1, v18, v17, v1
	v_pack_b32_f16 v7, v10, v11
	v_pack_b32_f16 v0, v1, v0
	ds_write2_b32 v23, v7, v0 offset0:15 offset1:20
	s_waitcnt vmcnt(20)
	v_lshrrev_b32_e32 v0, 16, v24
	v_mul_f16_sdwa v1, v19, v0 dst_sel:DWORD dst_unused:UNUSED_PAD src0_sel:WORD_1 src1_sel:DWORD
	v_mul_f16_sdwa v7, v19, v24 dst_sel:DWORD dst_unused:UNUSED_PAD src0_sel:WORD_1 src1_sel:DWORD
	v_fma_f16 v1, v19, v24, v1
	v_fma_f16 v0, v19, v0, -v7
	v_pack_b32_f16 v0, v1, v0
	s_waitcnt vmcnt(19)
	v_lshrrev_b32_e32 v1, 16, v9
	v_mul_f16_sdwa v7, v20, v1 dst_sel:DWORD dst_unused:UNUSED_PAD src0_sel:WORD_1 src1_sel:DWORD
	v_mul_f16_sdwa v8, v20, v9 dst_sel:DWORD dst_unused:UNUSED_PAD src0_sel:WORD_1 src1_sel:DWORD
	v_fma_f16 v7, v20, v9, v7
	v_fma_f16 v1, v20, v1, -v8
	v_pack_b32_f16 v1, v7, v1
	ds_write2_b32 v23, v0, v1 offset0:25 offset1:30
	s_waitcnt vmcnt(17)
	v_lshrrev_b32_e32 v0, 16, v14
	v_mul_f16_sdwa v7, v21, v14 dst_sel:DWORD dst_unused:UNUSED_PAD src0_sel:WORD_1 src1_sel:DWORD
	v_mul_f16_sdwa v1, v21, v0 dst_sel:DWORD dst_unused:UNUSED_PAD src0_sel:WORD_1 src1_sel:DWORD
	v_fma_f16 v0, v21, v0, -v7
	v_lshrrev_b32_e32 v7, 16, v13
	s_waitcnt vmcnt(16)
	v_mul_f16_sdwa v8, v15, v7 dst_sel:DWORD dst_unused:UNUSED_PAD src0_sel:WORD_1 src1_sel:DWORD
	v_mul_f16_sdwa v9, v15, v13 dst_sel:DWORD dst_unused:UNUSED_PAD src0_sel:WORD_1 src1_sel:DWORD
	v_fma_f16 v1, v21, v14, v1
	v_fma_f16 v8, v15, v13, v8
	v_fma_f16 v7, v15, v7, -v9
	v_pack_b32_f16 v0, v1, v0
	v_pack_b32_f16 v1, v8, v7
	ds_write2_b32 v23, v0, v1 offset0:35 offset1:40
	s_waitcnt vmcnt(8)
	v_lshrrev_b32_e32 v0, 16, v35
	v_mul_f16_sdwa v7, v16, v35 dst_sel:DWORD dst_unused:UNUSED_PAD src0_sel:WORD_1 src1_sel:DWORD
	v_mul_f16_sdwa v1, v16, v0 dst_sel:DWORD dst_unused:UNUSED_PAD src0_sel:WORD_1 src1_sel:DWORD
	v_fma_f16 v0, v16, v0, -v7
	s_waitcnt vmcnt(7)
	v_lshrrev_b32_e32 v7, 16, v36
	v_mul_f16_sdwa v8, v22, v7 dst_sel:DWORD dst_unused:UNUSED_PAD src0_sel:WORD_1 src1_sel:DWORD
	v_mul_f16_sdwa v9, v22, v36 dst_sel:DWORD dst_unused:UNUSED_PAD src0_sel:WORD_1 src1_sel:DWORD
	v_fma_f16 v1, v16, v35, v1
	v_fma_f16 v8, v22, v36, v8
	v_fma_f16 v7, v22, v7, -v9
	v_pack_b32_f16 v0, v1, v0
	v_pack_b32_f16 v1, v8, v7
	ds_write2_b32 v23, v0, v1 offset0:45 offset1:50
	s_waitcnt vmcnt(6)
	v_lshrrev_b32_e32 v0, 16, v37
	v_mul_f16_sdwa v1, v30, v0 dst_sel:DWORD dst_unused:UNUSED_PAD src0_sel:WORD_1 src1_sel:DWORD
	v_mul_f16_sdwa v7, v30, v37 dst_sel:DWORD dst_unused:UNUSED_PAD src0_sel:WORD_1 src1_sel:DWORD
	v_fma_f16 v1, v30, v37, v1
	v_fma_f16 v0, v30, v0, -v7
	v_pack_b32_f16 v0, v1, v0
	s_waitcnt vmcnt(5)
	v_lshrrev_b32_e32 v1, 16, v38
	v_mul_f16_sdwa v7, v31, v1 dst_sel:DWORD dst_unused:UNUSED_PAD src0_sel:WORD_1 src1_sel:DWORD
	v_mul_f16_sdwa v8, v31, v38 dst_sel:DWORD dst_unused:UNUSED_PAD src0_sel:WORD_1 src1_sel:DWORD
	v_fma_f16 v7, v31, v38, v7
	v_fma_f16 v1, v31, v1, -v8
	v_pack_b32_f16 v1, v7, v1
	ds_write2_b32 v23, v0, v1 offset0:55 offset1:60
	s_waitcnt vmcnt(4)
	v_lshrrev_b32_e32 v0, 16, v6
	v_mul_f16_sdwa v1, v32, v0 dst_sel:DWORD dst_unused:UNUSED_PAD src0_sel:WORD_1 src1_sel:DWORD
	v_fma_f16 v1, v32, v6, v1
	v_mul_f16_sdwa v6, v32, v6 dst_sel:DWORD dst_unused:UNUSED_PAD src0_sel:WORD_1 src1_sel:DWORD
	v_fma_f16 v0, v32, v0, -v6
	v_pack_b32_f16 v0, v1, v0
	s_waitcnt vmcnt(3)
	v_lshrrev_b32_e32 v1, 16, v39
	v_mul_f16_sdwa v6, v33, v1 dst_sel:DWORD dst_unused:UNUSED_PAD src0_sel:WORD_1 src1_sel:DWORD
	v_mul_f16_sdwa v7, v33, v39 dst_sel:DWORD dst_unused:UNUSED_PAD src0_sel:WORD_1 src1_sel:DWORD
	v_fma_f16 v6, v33, v39, v6
	v_fma_f16 v1, v33, v1, -v7
	v_pack_b32_f16 v1, v6, v1
	ds_write2_b32 v23, v0, v1 offset0:65 offset1:70
	s_waitcnt vmcnt(2)
	v_lshrrev_b32_e32 v0, 16, v5
	v_mul_f16_sdwa v1, v34, v0 dst_sel:DWORD dst_unused:UNUSED_PAD src0_sel:WORD_1 src1_sel:DWORD
	v_fma_f16 v1, v34, v5, v1
	v_mul_f16_sdwa v5, v34, v5 dst_sel:DWORD dst_unused:UNUSED_PAD src0_sel:WORD_1 src1_sel:DWORD
	v_fma_f16 v0, v34, v0, -v5
	v_pack_b32_f16 v0, v1, v0
	s_waitcnt vmcnt(1)
	v_lshrrev_b32_e32 v1, 16, v2
	s_waitcnt vmcnt(0)
	v_mul_f16_sdwa v5, v3, v1 dst_sel:DWORD dst_unused:UNUSED_PAD src0_sel:WORD_1 src1_sel:DWORD
	v_fma_f16 v5, v3, v2, v5
	v_mul_f16_sdwa v2, v3, v2 dst_sel:DWORD dst_unused:UNUSED_PAD src0_sel:WORD_1 src1_sel:DWORD
	v_fma_f16 v1, v3, v1, -v2
	v_pack_b32_f16 v1, v5, v1
	ds_write2_b32 v23, v0, v1 offset0:75 offset1:80
.LBB0_3:
	s_or_b64 exec, exec, s[14:15]
	s_load_dwordx2 s[2:3], s[4:5], 0x20
	s_load_dwordx2 s[0:1], s[4:5], 0x8
	v_mov_b32_e32 v0, 0
	s_waitcnt lgkmcnt(0)
	s_barrier
	s_waitcnt lgkmcnt(0)
                                        ; implicit-def: $vgpr2
                                        ; implicit-def: $vgpr15
                                        ; implicit-def: $vgpr14
                                        ; implicit-def: $vgpr21
                                        ; implicit-def: $vgpr18
                                        ; implicit-def: $vgpr23
                                        ; implicit-def: $vgpr20
                                        ; implicit-def: $vgpr41
                                        ; implicit-def: $vgpr45
                                        ; implicit-def: $vgpr42
	s_and_saveexec_b64 s[4:5], vcc
	s_cbranch_execz .LBB0_5
; %bb.4:
	v_lshl_add_u32 v5, v28, 2, v26
	ds_read2_b32 v[0:1], v5 offset1:5
	ds_read2_b32 v[19:20], v5 offset0:10 offset1:15
	ds_read2_b32 v[17:18], v5 offset0:20 offset1:25
	;; [unrolled: 1-line block ×7, first 2 shown]
	ds_read_b32 v42, v5 offset:320
	s_waitcnt lgkmcnt(7)
	v_alignbit_b32 v45, v19, v19, 16
	s_waitcnt lgkmcnt(2)
	v_alignbit_b32 v41, v24, v24, 16
.LBB0_5:
	s_or_b64 exec, exec, s[4:5]
	s_waitcnt lgkmcnt(0)
	v_pk_add_f16 v47, v42, v1 op_sel:[1,1] op_sel_hi:[0,0]
	v_pk_add_f16 v19, v1, v42 op_sel:[1,1] op_sel_hi:[0,0] neg_lo:[0,1] neg_hi:[0,1]
	v_lshrrev_b32_e32 v48, 16, v47
	s_movk_i32 s5, 0x39e9
	v_mul_f16_e32 v46, 0xb964, v19
	v_pk_add_f16 v56, v41, v45
	v_pk_add_f16 v30, v45, v41 neg_lo:[0,1] neg_hi:[0,1]
	s_movk_i32 s4, 0x2de8
	v_fma_f16 v5, v48, s5, v46
	v_lshrrev_b32_e32 v58, 16, v56
	v_mul_f16_e32 v49, 0xbbf7, v30
	v_add_f16_e32 v5, v5, v0
	v_fma_f16 v6, v58, s4, v49
	s_movk_i32 s8, 0x3722
	v_mul_f16_e32 v51, 0xbb29, v19
	v_add_f16_e32 v5, v6, v5
	s_mov_b32 s9, 0xb8d2
	v_fma_f16 v6, v48, s8, v51
	v_mul_f16_e32 v52, 0xba62, v30
	s_mov_b32 s16, 0xba62
	v_pk_add_f16 v31, v20, v23 neg_lo:[0,1] neg_hi:[0,1]
	v_add_f16_e32 v6, v6, v0
	v_fma_f16 v7, v58, s9, v52
	v_pk_add_f16 v61, v23, v20
	v_mul_f16_sdwa v50, v31, s16 dst_sel:DWORD dst_unused:UNUSED_PAD src0_sel:WORD_1 src1_sel:DWORD
	s_movk_i32 s11, 0x31e1
	v_add_f16_e32 v6, v7, v6
	v_fma_f16 v7, v61, s9, v50
	s_mov_b32 s10, 0xbbdd
	v_mul_f16_sdwa v54, v31, s11 dst_sel:DWORD dst_unused:UNUSED_PAD src0_sel:WORD_1 src1_sel:DWORD
	s_mov_b32 s11, 0xb1e1
	v_pk_add_f16 v32, v17, v22 neg_lo:[0,1] neg_hi:[0,1]
	v_add_f16_e32 v5, v7, v5
	v_fma_f16 v7, v61, s10, v54
	v_pk_add_f16 v63, v22, v17
	v_mul_f16_sdwa v53, v32, s11 dst_sel:DWORD dst_unused:UNUSED_PAD src0_sel:WORD_1 src1_sel:DWORD
	s_movk_i32 s20, 0x3bb2
	v_add_f16_e32 v6, v7, v6
	v_fma_f16 v7, v63, s10, v53
	s_mov_b32 s14, 0xb461
	v_mul_f16_sdwa v57, v32, s20 dst_sel:DWORD dst_unused:UNUSED_PAD src0_sel:WORD_1 src1_sel:DWORD
	s_movk_i32 s21, 0x3836
	v_pk_add_f16 v33, v18, v21 neg_lo:[0,1] neg_hi:[0,1]
	v_add_f16_e32 v5, v7, v5
	v_fma_f16 v7, v63, s14, v57
	s_mov_b32 s15, 0xbacd
	v_pk_add_f16 v66, v21, v18
	v_mul_f16_sdwa v55, v33, s21 dst_sel:DWORD dst_unused:UNUSED_PAD src0_sel:WORD_1 src1_sel:DWORD
	s_movk_i32 s25, 0x3964
	v_add_f16_e32 v6, v7, v6
	v_fma_f16 v7, v66, s15, v55
	v_mul_f16_sdwa v60, v33, s25 dst_sel:DWORD dst_unused:UNUSED_PAD src0_sel:WORD_1 src1_sel:DWORD
	v_pk_add_f16 v34, v13, v16 neg_lo:[0,1] neg_hi:[0,1]
	v_add_f16_e32 v5, v7, v5
	v_fma_f16 v7, v66, s5, v60
	v_pk_add_f16 v68, v16, v13
	v_mul_f16_sdwa v59, v34, s20 dst_sel:DWORD dst_unused:UNUSED_PAD src0_sel:WORD_1 src1_sel:DWORD
	s_mov_b32 s27, 0xb5c8
	v_add_f16_e32 v6, v7, v6
	v_fma_f16 v7, v68, s14, v59
	s_movk_i32 s17, 0x3b76
	v_mul_f16_sdwa v64, v34, s27 dst_sel:DWORD dst_unused:UNUSED_PAD src0_sel:WORD_1 src1_sel:DWORD
	s_movk_i32 s23, 0x3b29
	v_pk_add_f16 v35, v14, v15 neg_lo:[0,1] neg_hi:[0,1]
	v_add_f16_e32 v5, v7, v5
	v_fma_f16 v7, v68, s17, v64
	v_pk_add_f16 v70, v15, v14
	v_mul_f16_sdwa v62, v35, s23 dst_sel:DWORD dst_unused:UNUSED_PAD src0_sel:WORD_1 src1_sel:DWORD
	s_mov_b32 s22, 0xbbf7
	v_add_f16_e32 v6, v7, v6
	v_fma_f16 v7, v70, s8, v62
	v_mul_f16_sdwa v67, v35, s22 dst_sel:DWORD dst_unused:UNUSED_PAD src0_sel:WORD_1 src1_sel:DWORD
	v_pk_add_f16 v24, v2, v3
	v_pk_add_f16 v43, v2, v3 neg_lo:[0,1] neg_hi:[0,1]
	v_add_f16_e32 v5, v7, v5
	v_fma_f16 v7, v70, s4, v67
	s_movk_i32 s24, 0x35c8
	v_lshrrev_b32_e32 v71, 16, v43
	v_mul_f16_e32 v65, 0x3b76, v24
	v_add_f16_e32 v7, v7, v6
	s_mov_b32 s19, 0xb836
	v_fma_f16 v6, v71, s24, v65
	v_mul_f16_e32 v69, 0xbacd, v24
	v_add_f16_e32 v6, v6, v5
	v_fma_f16 v5, v71, s19, v69
	v_mul_f16_e32 v72, 0xbbf7, v19
	v_add_f16_e32 v5, v5, v7
	;; [unrolled: 3-line block ×5, first 2 shown]
	v_fma_f16 v9, v58, s15, v37
	v_mul_f16_sdwa v74, v31, s20 dst_sel:DWORD dst_unused:UNUSED_PAD src0_sel:WORD_1 src1_sel:DWORD
	v_add_f16_e32 v8, v9, v8
	v_fma_f16 v9, v61, s14, v74
	v_mul_f16_sdwa v38, v31, s25 dst_sel:DWORD dst_unused:UNUSED_PAD src0_sel:WORD_1 src1_sel:DWORD
	v_add_f16_e32 v7, v9, v7
	v_fma_f16 v9, v61, s5, v38
	v_mul_f16_sdwa v75, v32, s24 dst_sel:DWORD dst_unused:UNUSED_PAD src0_sel:WORD_1 src1_sel:DWORD
	s_mov_b32 s26, 0xbb29
	v_add_f16_e32 v8, v9, v8
	v_fma_f16 v9, v63, s17, v75
	v_mul_f16_sdwa v39, v32, s26 dst_sel:DWORD dst_unused:UNUSED_PAD src0_sel:WORD_1 src1_sel:DWORD
	v_add_f16_e32 v7, v9, v7
	v_fma_f16 v9, v63, s8, v39
	v_mul_f16_sdwa v76, v33, s26 dst_sel:DWORD dst_unused:UNUSED_PAD src0_sel:WORD_1 src1_sel:DWORD
	;; [unrolled: 3-line block ×4, first 2 shown]
	s_movk_i32 s28, 0x3bf7
	v_add_f16_e32 v8, v9, v8
	v_fma_f16 v9, v68, s15, v77
	v_mul_f16_sdwa v44, v34, s28 dst_sel:DWORD dst_unused:UNUSED_PAD src0_sel:WORD_1 src1_sel:DWORD
	s_movk_i32 s18, 0x3a62
	v_add_f16_e32 v7, v9, v7
	v_fma_f16 v9, v68, s4, v44
	v_mul_f16_sdwa v78, v35, s18 dst_sel:DWORD dst_unused:UNUSED_PAD src0_sel:WORD_1 src1_sel:DWORD
	v_add_f16_e32 v8, v9, v8
	v_fma_f16 v9, v70, s9, v78
	v_mul_f16_sdwa v105, v35, s27 dst_sel:DWORD dst_unused:UNUSED_PAD src0_sel:WORD_1 src1_sel:DWORD
	v_add_f16_e32 v7, v9, v7
	v_fma_f16 v9, v70, s17, v105
	v_mul_f16_e32 v79, 0x39e9, v24
	v_add_f16_e32 v9, v9, v8
	v_fma_f16 v8, v71, s25, v79
	v_mul_f16_e32 v133, 0xb8d2, v24
	;; [unrolled: 3-line block ×3, first 2 shown]
	v_add_f16_e32 v7, v7, v9
	v_fma_f16 v9, v48, s9, -v11
	v_mul_f16_e32 v12, 0x3bb2, v30
	v_add_f16_e32 v9, v9, v0
	v_fma_f16 v10, v58, s14, -v12
	v_mul_f16_e32 v80, 0xb836, v19
	;; [unrolled: 3-line block ×3, first 2 shown]
	v_add_f16_e32 v10, v10, v0
	v_fma_f16 v82, v58, s8, -v81
	v_add_f16_e32 v10, v82, v10
	v_mul_f16_sdwa v82, v31, s27 dst_sel:DWORD dst_unused:UNUSED_PAD src0_sel:WORD_1 src1_sel:DWORD
	v_fma_f16 v83, v61, s17, -v82
	v_add_f16_e32 v9, v83, v9
	v_mul_f16_sdwa v83, v31, s22 dst_sel:DWORD dst_unused:UNUSED_PAD src0_sel:WORD_1 src1_sel:DWORD
	;; [unrolled: 3-line block ×5, first 2 shown]
	v_fma_f16 v87, v66, s4, -v86
	v_fma_f16 v11, v48, s9, v11
	v_add_f16_e32 v9, v87, v9
	v_mul_f16_sdwa v87, v33, s27 dst_sel:DWORD dst_unused:UNUSED_PAD src0_sel:WORD_1 src1_sel:DWORD
	v_fma_f16 v12, v58, s14, v12
	v_add_f16_e32 v11, v11, v0
	v_fma_f16 v88, v66, s17, -v87
	s_mov_b32 s27, 0xb964
	v_add_f16_e32 v11, v12, v11
	v_fma_f16 v12, v48, s15, v80
	v_add_f16_e32 v10, v88, v10
	v_mul_f16_sdwa v88, v34, s27 dst_sel:DWORD dst_unused:UNUSED_PAD src0_sel:WORD_1 src1_sel:DWORD
	v_fma_f16 v80, v58, s8, v81
	v_add_f16_e32 v12, v12, v0
	v_fma_f16 v89, v68, s5, -v88
	v_add_f16_e32 v12, v80, v12
	v_fma_f16 v80, v61, s17, v82
	v_add_f16_e32 v9, v89, v9
	v_mul_f16_sdwa v89, v34, s11 dst_sel:DWORD dst_unused:UNUSED_PAD src0_sel:WORD_1 src1_sel:DWORD
	v_add_f16_e32 v11, v80, v11
	v_fma_f16 v80, v61, s4, v83
	v_fma_f16 v90, v68, s10, -v89
	v_add_f16_e32 v12, v80, v12
	v_fma_f16 v80, v63, s15, v84
	v_add_f16_e32 v10, v90, v10
	v_mul_f16_sdwa v90, v35, s11 dst_sel:DWORD dst_unused:UNUSED_PAD src0_sel:WORD_1 src1_sel:DWORD
	v_add_f16_e32 v11, v80, v11
	v_fma_f16 v80, v63, s9, v85
	v_fma_f16 v91, v70, s10, -v90
	v_add_f16_e32 v12, v80, v12
	v_fma_f16 v80, v66, s4, v86
	v_add_f16_e32 v9, v91, v9
	v_mul_f16_sdwa v91, v35, s25 dst_sel:DWORD dst_unused:UNUSED_PAD src0_sel:WORD_1 src1_sel:DWORD
	v_add_f16_e32 v11, v80, v11
	v_fma_f16 v80, v66, s17, v87
	v_fma_f16 v92, v70, s5, -v91
	v_add_f16_e32 v12, v80, v12
	v_fma_f16 v80, v68, s5, v88
	v_add_f16_e32 v10, v92, v10
	v_mul_f16_e32 v92, 0x3722, v24
	v_add_f16_e32 v11, v80, v11
	v_fma_f16 v80, v68, s10, v89
	v_fma_f16 v93, v71, s26, v92
	v_add_f16_e32 v12, v80, v12
	v_fma_f16 v80, v70, s10, v90
	v_add_f16_e32 v9, v93, v9
	v_mul_f16_e32 v93, 0xb461, v24
	v_add_f16_e32 v11, v80, v11
	v_fma_f16 v80, v70, s5, v91
	s_mov_b32 s25, 0xbbb2
	v_add_f16_e32 v80, v80, v12
	v_fma_f16 v12, v71, s23, v92
	v_fma_f16 v81, v71, s25, v93
	v_add_f16_e32 v12, v12, v11
	v_add_f16_e32 v11, v81, v80
	v_mul_f16_e32 v80, 0xb5c8, v19
	v_fma_f16 v81, v48, s17, v80
	v_add_f16_e32 v82, v81, v0
	v_mul_f16_e32 v81, 0xb964, v30
	v_fma_f16 v83, v58, s5, v81
	v_add_f16_e32 v87, v83, v82
	v_mul_f16_sdwa v82, v19, s27 dst_sel:DWORD dst_unused:UNUSED_PAD src0_sel:WORD_1 src1_sel:DWORD
	v_fma_f16 v83, v47, s5, -v82
	v_add_f16_sdwa v84, v83, v0 dst_sel:DWORD dst_unused:UNUSED_PAD src0_sel:DWORD src1_sel:WORD_1
	v_mul_f16_sdwa v83, v30, s22 dst_sel:DWORD dst_unused:UNUSED_PAD src0_sel:WORD_1 src1_sel:DWORD
	v_fma_f16 v85, v56, s4, -v83
	v_add_f16_e32 v91, v85, v84
	v_mul_f16_sdwa v85, v19, s26 dst_sel:DWORD dst_unused:UNUSED_PAD src0_sel:WORD_1 src1_sel:DWORD
	v_fma_f16 v84, v47, s8, -v85
	v_mul_f16_sdwa v86, v30, s16 dst_sel:DWORD dst_unused:UNUSED_PAD src0_sel:WORD_1 src1_sel:DWORD
	v_add_f16_sdwa v84, v84, v0 dst_sel:DWORD dst_unused:UNUSED_PAD src0_sel:DWORD src1_sel:WORD_1
	v_fma_f16 v88, v56, s9, -v86
	v_mul_f16_sdwa v89, v19, s22 dst_sel:DWORD dst_unused:UNUSED_PAD src0_sel:WORD_1 src1_sel:DWORD
	v_fma_f16 v36, v48, s14, -v36
	v_fma_f16 v94, v71, s20, v93
	v_add_f16_e32 v93, v88, v84
	v_fma_f16 v84, v47, s4, -v89
	v_mul_f16_sdwa v90, v30, s11 dst_sel:DWORD dst_unused:UNUSED_PAD src0_sel:WORD_1 src1_sel:DWORD
	v_fma_f16 v37, v58, s15, -v37
	v_add_f16_e32 v36, v36, v0
	v_add_f16_sdwa v84, v84, v0 dst_sel:DWORD dst_unused:UNUSED_PAD src0_sel:DWORD src1_sel:WORD_1
	v_fma_f16 v88, v56, s10, -v90
	v_add_f16_e32 v36, v37, v36
	v_mul_f16_sdwa v37, v19, s25 dst_sel:DWORD dst_unused:UNUSED_PAD src0_sel:WORD_1 src1_sel:DWORD
	v_add_f16_e32 v96, v88, v84
	v_fma_f16 v84, v47, s14, v37
	v_mul_f16_sdwa v88, v30, s21 dst_sel:DWORD dst_unused:UNUSED_PAD src0_sel:WORD_1 src1_sel:DWORD
	v_add_f16_sdwa v84, v84, v0 dst_sel:DWORD dst_unused:UNUSED_PAD src0_sel:DWORD src1_sel:WORD_1
	v_fma_f16 v92, v56, s15, v88
	v_fma_f16 v37, v47, s14, -v37
	v_add_f16_e32 v97, v92, v84
	v_fma_f16 v84, v56, s15, -v88
	v_add_f16_sdwa v37, v37, v0 dst_sel:DWORD dst_unused:UNUSED_PAD src0_sel:DWORD src1_sel:WORD_1
	v_add_f16_e32 v37, v84, v37
	v_mul_f16_sdwa v84, v19, s16 dst_sel:DWORD dst_unused:UNUSED_PAD src0_sel:WORD_1 src1_sel:DWORD
	v_fma_f16 v88, v47, s9, v84
	v_mul_f16_sdwa v92, v30, s20 dst_sel:DWORD dst_unused:UNUSED_PAD src0_sel:WORD_1 src1_sel:DWORD
	v_add_f16_e32 v10, v94, v10
	v_add_f16_sdwa v88, v88, v0 dst_sel:DWORD dst_unused:UNUSED_PAD src0_sel:DWORD src1_sel:WORD_1
	v_fma_f16 v94, v56, s14, v92
	v_fma_f16 v84, v47, s9, -v84
	v_add_f16_e32 v98, v94, v88
	v_fma_f16 v88, v56, s14, -v92
	v_add_f16_sdwa v84, v84, v0 dst_sel:DWORD dst_unused:UNUSED_PAD src0_sel:DWORD src1_sel:WORD_1
	v_add_f16_e32 v99, v88, v84
	v_mul_f16_sdwa v84, v19, s19 dst_sel:DWORD dst_unused:UNUSED_PAD src0_sel:WORD_1 src1_sel:DWORD
	v_fma_f16 v88, v47, s15, v84
	v_mul_f16_sdwa v92, v30, s23 dst_sel:DWORD dst_unused:UNUSED_PAD src0_sel:WORD_1 src1_sel:DWORD
	v_add_f16_sdwa v88, v88, v0 dst_sel:DWORD dst_unused:UNUSED_PAD src0_sel:DWORD src1_sel:WORD_1
	v_fma_f16 v94, v56, s8, v92
	v_fma_f16 v84, v47, s15, -v84
	s_mov_b32 s20, 0xb5c8b1e1
	v_add_f16_e32 v100, v94, v88
	v_fma_f16 v88, v56, s8, -v92
	v_add_f16_sdwa v84, v84, v0 dst_sel:DWORD dst_unused:UNUSED_PAD src0_sel:DWORD src1_sel:WORD_1
	s_mov_b32 s21, 0xbbdd3b76
	v_pk_mul_f16 v111, v19, s20
	s_mov_b32 s23, 0xb96435c8
	v_add_f16_e32 v101, v88, v84
	v_pk_fma_f16 v84, v47, s21, v111 op_sel:[0,0,1] op_sel_hi:[1,1,0] neg_lo:[0,0,1] neg_hi:[0,0,1]
	s_mov_b32 s20, 0x3b7639e9
	v_pk_mul_f16 v94, v30, s23
	v_mul_f16_sdwa v19, v19, s11 dst_sel:DWORD dst_unused:UNUSED_PAD src0_sel:WORD_1 src1_sel:DWORD
	v_pk_add_f16 v84, v84, v0 op_sel:[0,1] op_sel_hi:[1,0]
	v_pk_fma_f16 v88, v56, s20, v94 op_sel:[0,0,1] op_sel_hi:[1,1,0] neg_lo:[0,0,1] neg_hi:[0,0,1]
	v_mul_f16_sdwa v117, v30, s24 dst_sel:DWORD dst_unused:UNUSED_PAD src0_sel:WORD_1 src1_sel:DWORD
	v_fma_f16 v30, v47, s10, -v19
	v_pk_add_f16 v102, v88, v84
	v_add_f16_sdwa v30, v30, v0 dst_sel:DWORD dst_unused:UNUSED_PAD src0_sel:DWORD src1_sel:WORD_1
	v_fma_f16 v84, v56, s17, -v117
	v_add_f16_e32 v30, v84, v30
	v_mul_f16_sdwa v84, v31, s26 dst_sel:DWORD dst_unused:UNUSED_PAD src0_sel:WORD_1 src1_sel:DWORD
	v_fma_f16 v88, v61, s8, v84
	v_add_f16_e32 v103, v88, v87
	v_lshrrev_b32_e32 v104, 16, v61
	v_mul_f16_e32 v88, 0xba62, v31
	v_fma_f16 v87, v104, s9, -v88
	v_mul_f16_e32 v92, 0x31e1, v31
	v_add_f16_e32 v91, v87, v91
	v_fma_f16 v87, v104, s10, -v92
	v_mul_f16_e32 v95, 0x3bb2, v31
	v_fma_f16 v38, v61, s5, -v38
	v_add_f16_e32 v106, v87, v93
	v_fma_f16 v87, v104, s14, -v95
	v_add_f16_e32 v36, v38, v36
	v_mul_f16_e32 v38, 0x3964, v31
	v_add_f16_e32 v107, v87, v96
	v_fma_f16 v87, v104, s5, v38
	v_fma_f16 v38, v104, s5, -v38
	v_add_f16_e32 v37, v38, v37
	v_mul_f16_e32 v38, 0xb5c8, v31
	v_add_f16_e32 v97, v87, v97
	v_fma_f16 v87, v104, s17, v38
	v_add_f16_e32 v98, v87, v98
	v_fma_f16 v38, v104, s17, -v38
	v_mul_f16_e32 v87, 0xbbf7, v31
	s_mov_b32 s24, 0xb836bb29
	v_add_f16_e32 v38, v38, v99
	v_fma_f16 v93, v104, s4, v87
	v_fma_f16 v87, v104, s4, -v87
	s_mov_b32 s23, 0x3722bacd
	v_pk_mul_f16 v99, v31, s24
	v_add_f16_e32 v101, v87, v101
	v_pk_fma_f16 v87, v61, s23, v99 op_sel:[0,0,1] op_sel_hi:[1,1,0] neg_lo:[0,0,1] neg_hi:[0,0,1]
	v_mul_f16_e32 v121, 0xb836, v31
	v_add_f16_e32 v109, v93, v100
	v_pk_add_f16 v102, v87, v102 op_sel:[1,0] op_sel_hi:[0,1]
	v_fma_f16 v31, v104, s15, -v121
	v_mul_f16_sdwa v87, v32, s22 dst_sel:DWORD dst_unused:UNUSED_PAD src0_sel:WORD_1 src1_sel:DWORD
	v_lshrrev_b32_e32 v108, 16, v63
	v_mul_f16_e32 v93, 0xb1e1, v32
	v_add_f16_e32 v30, v31, v30
	v_fma_f16 v31, v63, s4, v87
	v_fma_f16 v96, v108, s10, -v93
	v_add_f16_e32 v31, v31, v103
	v_add_f16_e32 v103, v96, v91
	v_mul_f16_e32 v96, 0x3bb2, v32
	v_fma_f16 v91, v108, s14, -v96
	v_mul_f16_e32 v100, 0x35c8, v32
	v_fma_f16 v39, v63, s8, -v39
	v_add_f16_e32 v110, v91, v106
	v_fma_f16 v91, v108, s17, -v100
	v_add_f16_e32 v36, v39, v36
	v_mul_f16_e32 v39, 0xbb29, v32
	v_add_f16_e32 v113, v91, v107
	v_fma_f16 v91, v108, s8, v39
	v_fma_f16 v39, v108, s8, -v39
	v_add_f16_e32 v37, v39, v37
	v_mul_f16_e32 v39, 0xb836, v32
	v_add_f16_e32 v97, v91, v97
	v_fma_f16 v91, v108, s15, v39
	v_fma_f16 v39, v108, s15, -v39
	v_add_f16_e32 v38, v39, v38
	v_mul_f16_e32 v39, 0x3a62, v32
	s_mov_b32 s24, 0x3964bbf7
	v_add_f16_e32 v114, v91, v98
	v_fma_f16 v91, v108, s9, v39
	s_mov_b32 s22, 0x2de839e9
	v_pk_mul_f16 v106, v32, s24
	v_add_f16_e32 v109, v91, v109
	v_pk_fma_f16 v91, v63, s22, v106 op_sel:[0,0,1] op_sel_hi:[1,1,0] neg_lo:[0,0,1] neg_hi:[0,0,1]
	v_mul_f16_e32 v125, 0x3964, v32
	v_pk_add_f16 v102, v91, v102 op_sel:[1,0] op_sel_hi:[0,1]
	v_fma_f16 v32, v108, s5, -v125
	v_mul_f16_sdwa v91, v33, s25 dst_sel:DWORD dst_unused:UNUSED_PAD src0_sel:WORD_1 src1_sel:DWORD
	v_fma_f16 v39, v108, s9, -v39
	v_add_f16_e32 v30, v32, v30
	v_fma_f16 v32, v66, s14, v91
	v_lshrrev_b32_e32 v112, 16, v66
	v_mul_f16_e32 v98, 0x3836, v33
	v_add_f16_e32 v39, v39, v101
	v_add_f16_e32 v31, v32, v31
	v_fma_f16 v32, v112, s15, -v98
	v_mul_f16_e32 v101, 0x3964, v33
	v_add_f16_e32 v32, v32, v103
	v_fma_f16 v103, v112, s5, -v101
	v_mul_f16_e32 v107, 0xbb29, v33
	v_fma_f16 v40, v66, s10, -v40
	v_add_f16_e32 v103, v103, v110
	v_fma_f16 v110, v112, s8, -v107
	v_add_f16_e32 v36, v40, v36
	v_mul_f16_e32 v40, 0xb1e1, v33
	v_add_f16_e32 v110, v110, v113
	v_fma_f16 v113, v112, s10, v40
	v_fma_f16 v40, v112, s10, -v40
	v_add_f16_e32 v37, v40, v37
	v_mul_f16_e32 v40, 0x3bf7, v33
	v_add_f16_e32 v115, v113, v97
	v_fma_f16 v97, v112, s4, v40
	v_fma_f16 v40, v112, s4, -v40
	v_add_f16_e32 v38, v40, v38
	v_mul_f16_e32 v40, 0xb5c8, v33
	s_mov_b32 s25, 0xba62bbb2
	v_add_f16_e32 v116, v97, v114
	v_fma_f16 v97, v112, s17, v40
	v_fma_f16 v40, v112, s17, -v40
	s_mov_b32 s24, 0xb461b8d2
	v_pk_mul_f16 v113, v33, s25
	v_mul_f16_e32 v126, 0xba62, v33
	v_add_f16_e32 v118, v97, v109
	v_add_f16_e32 v39, v40, v39
	v_pk_fma_f16 v40, v66, s24, v113 op_sel:[0,0,1] op_sel_hi:[1,1,0] neg_lo:[0,0,1] neg_hi:[0,0,1]
	v_fma_f16 v33, v112, s9, -v126
	v_mul_f16_sdwa v97, v34, s16 dst_sel:DWORD dst_unused:UNUSED_PAD src0_sel:WORD_1 src1_sel:DWORD
	v_pk_add_f16 v40, v40, v102 op_sel:[1,0] op_sel_hi:[0,1]
	v_add_f16_e32 v30, v33, v30
	v_fma_f16 v33, v68, s9, v97
	v_lshrrev_b32_e32 v119, 16, v68
	v_mul_f16_e32 v102, 0x3bb2, v34
	v_add_f16_e32 v31, v33, v31
	v_fma_f16 v33, v119, s14, -v102
	v_mul_f16_e32 v109, 0xb5c8, v34
	v_add_f16_e32 v32, v33, v32
	v_fma_f16 v33, v119, s17, -v109
	v_mul_f16_e32 v114, 0xb836, v34
	v_fma_f16 v44, v68, s4, -v44
	v_add_f16_e32 v33, v33, v103
	v_fma_f16 v103, v119, s15, -v114
	v_add_f16_e32 v36, v44, v36
	v_mul_f16_e32 v44, 0x3bf7, v34
	v_add_f16_e32 v120, v103, v110
	v_fma_f16 v103, v119, s4, v44
	v_fma_f16 v44, v119, s4, -v44
	v_add_f16_e32 v37, v44, v37
	v_mul_f16_e32 v44, 0xb964, v34
	v_add_f16_e32 v124, v103, v115
	v_fma_f16 v103, v119, s5, v44
	v_fma_f16 v44, v119, s5, -v44
	v_add_f16_e32 v38, v44, v38
	v_mul_f16_e32 v44, 0xb1e1, v34
	s_mov_b32 s25, 0x3b29ba62
	v_add_f16_e32 v116, v103, v116
	v_fma_f16 v103, v119, s10, v44
	v_fma_f16 v44, v119, s10, -v44
	s_mov_b32 s16, 0xb8d23722
	v_pk_mul_f16 v122, v34, s25
	v_add_f16_e32 v39, v44, v39
	v_pk_fma_f16 v44, v68, s16, v122 op_sel:[0,0,1] op_sel_hi:[1,1,0] neg_lo:[0,0,1] neg_hi:[0,0,1]
	v_pk_add_f16 v40, v44, v40 op_sel:[1,0] op_sel_hi:[0,1]
	v_mul_f16_e32 v44, 0x3b29, v34
	v_add_f16_e32 v118, v103, v118
	v_fma_f16 v34, v119, s8, -v44
	v_mul_f16_sdwa v103, v35, s19 dst_sel:DWORD dst_unused:UNUSED_PAD src0_sel:WORD_1 src1_sel:DWORD
	v_add_f16_e32 v30, v34, v30
	v_fma_f16 v34, v70, s15, v103
	v_lshrrev_b32_e32 v128, 16, v70
	v_mul_f16_e32 v110, 0x3b29, v35
	v_add_f16_e32 v31, v34, v31
	v_fma_f16 v34, v128, s8, -v110
	v_mul_f16_e32 v115, 0xbbf7, v35
	v_add_f16_e32 v32, v34, v32
	v_fma_f16 v34, v128, s4, -v115
	;; [unrolled: 3-line block ×3, first 2 shown]
	v_add_f16_e32 v120, v33, v120
	v_fma_f16 v33, v70, s17, -v105
	v_add_f16_e32 v134, v33, v36
	v_mul_f16_e32 v33, 0xb5c8, v35
	v_fma_f16 v36, v128, s17, v33
	v_fma_f16 v33, v128, s17, -v33
	v_add_f16_e32 v37, v33, v37
	v_mul_f16_e32 v33, 0xb1e1, v35
	v_add_f16_e32 v127, v36, v124
	v_fma_f16 v36, v128, s10, v33
	v_fma_f16 v33, v128, s10, -v33
	v_add_f16_e32 v38, v33, v38
	v_mul_f16_e32 v33, 0x3964, v35
	s_mov_b32 s25, 0xbbb2b836
	v_add_f16_e32 v132, v36, v116
	v_fma_f16 v36, v128, s5, v33
	v_fma_f16 v33, v128, s5, -v33
	s_mov_b32 s19, 0xbacdb461
	v_pk_mul_f16 v130, v35, s25
	v_add_f16_e32 v135, v33, v39
	v_pk_fma_f16 v33, v70, s19, v130 op_sel:[0,0,1] op_sel_hi:[1,1,0] neg_lo:[0,0,1] neg_hi:[0,0,1]
	v_mul_f16_e32 v136, 0xbbb2, v35
	v_pk_add_f16 v40, v33, v40 op_sel:[1,0] op_sel_hi:[0,1]
	v_fma_f16 v33, v128, s14, -v136
	v_mul_f16_e32 v105, 0xbbdd, v24
	v_add_f16_e32 v137, v33, v30
	v_fma_f16 v30, v71, s11, v105
	v_lshrrev_b32_e32 v131, 16, v24
	v_mul_f16_e32 v116, 0x35c8, v43
	v_add_f16_e32 v118, v36, v118
	v_add_f16_e32 v36, v30, v31
	v_fma_f16 v30, v131, s17, -v116
	v_mul_f16_e32 v124, 0xb836, v43
	v_add_f16_e32 v33, v30, v32
	v_fma_f16 v30, v131, s15, -v124
	v_mul_f16_e32 v129, 0x3964, v43
	;; [unrolled: 3-line block ×3, first 2 shown]
	v_add_f16_e32 v35, v30, v120
	v_fma_f16 v30, v131, s9, v31
	v_fma_f16 v31, v131, s9, -v31
	v_mul_f16_e32 v32, 0x3b29, v43
	v_add_f16_e32 v39, v31, v37
	v_fma_f16 v31, v131, s8, v32
	v_fma_f16 v32, v131, s8, -v32
	v_mul_f16_e32 v37, 0xbbb2, v43
	s_mov_b32 s8, 0x3bf7b1e1
	v_add_f16_e32 v31, v31, v132
	v_add_f16_e32 v38, v32, v38
	v_fma_f16 v32, v131, s14, v37
	s_mov_b32 s5, 0xbbdd2de8
	v_pk_mul_f16 v132, v43, s8
	v_add_f16_e32 v32, v32, v118
	v_pk_fma_f16 v118, v24, s5, v132 op_sel:[0,0,1] op_sel_hi:[1,1,0] neg_lo:[0,0,1] neg_hi:[0,0,1]
	v_pk_add_f16 v40, v118, v40 op_sel:[1,0] op_sel_hi:[0,1]
	v_pk_fma_f16 v111, v47, s21, v111 op_sel:[0,0,1] op_sel_hi:[1,1,0]
	s_mov_b32 s9, 0xffff
	s_mov_b32 s8, 0x5040100
	v_mul_f16_e32 v118, 0x3b76, v56
	v_bfi_b32 v117, s9, v117, v111
	v_perm_b32 v118, v0, v118, s8
	v_pk_add_f16 v117, v117, v118
	v_fma_f16 v19, v47, s10, v19
	v_pk_mul_f16 v118, v56, s20
	v_bfi_b32 v19, s9, v19, v118
	v_alignbit_b32 v120, v94, v0, 16
	v_pk_add_f16 v19, v19, v120
	v_pk_mul_f16 v120, v61, s23
	v_pk_add_f16 v19, v19, v117
	v_pack_b32_f16 v117, v121, v120
	v_mul_f16_e32 v121, 0xbacd, v104
	v_bfi_b32 v121, s9, v121, v99
	v_pk_add_f16 v117, v117, v121
	v_pk_mul_f16 v121, v63, s22
	v_pk_add_f16 v19, v117, v19
	v_pack_b32_f16 v117, v125, v121
	v_mul_f16_e32 v125, 0x39e9, v108
	v_bfi_b32 v125, s9, v125, v106
	;; [unrolled: 6-line block ×3, first 2 shown]
	v_pk_add_f16 v117, v117, v126
	v_pk_add_f16 v19, v117, v19
	v_pk_mul_f16 v126, v68, s16
	v_mul_f16_e32 v117, 0x3722, v119
	v_pack_b32_f16 v44, v44, v126
	v_bfi_b32 v117, s9, v117, v122
	v_add_f16_e32 v30, v30, v127
	v_pk_add_f16 v44, v44, v117
	v_pk_mul_f16 v127, v70, s19
	v_mul_f16_e32 v117, 0xb461, v128
	v_pk_add_f16 v19, v44, v19
	v_pack_b32_f16 v44, v136, v127
	v_bfi_b32 v117, s9, v117, v130
	v_pk_add_f16 v44, v44, v117
	v_pk_mul_f16 v117, v24, s5
	v_mul_f16_e32 v24, 0x3bf7, v43
	v_mul_f16_e32 v43, 0x2de8, v131
	v_pk_add_f16 v19, v44, v19
	v_bfi_b32 v43, s9, v43, v132
	v_pack_b32_f16 v44, v24, v117
	v_pk_add_f16 v43, v43, v44
	v_pk_add_f16 v43, v43, v19
	v_fma_f16 v19, v131, s4, -v24
	v_fma_f16 v37, v131, s14, -v37
	v_add_f16_e32 v44, v19, v137
	v_fma_f16 v19, v71, s18, v133
	v_add_f16_e32 v37, v37, v135
	v_add_f16_e32 v19, v19, v134
	v_mul_lo_u16_e32 v24, 17, v25
	s_barrier
	s_and_saveexec_b64 s[4:5], vcc
	s_cbranch_execz .LBB0_7
; %bb.6:
	v_mul_f16_e32 v135, 0x39e9, v47
	v_mul_f16_e32 v137, 0x3722, v47
	;; [unrolled: 1-line block ×6, first 2 shown]
	v_add_f16_e32 v47, v89, v47
	v_mul_f16_e32 v145, 0xb8d2, v104
	v_mul_f16_e32 v147, 0xbbdd, v104
	;; [unrolled: 1-line block ×3, first 2 shown]
	v_add_f16_sdwa v47, v47, v0 dst_sel:DWORD dst_unused:UNUSED_PAD src0_sel:DWORD src1_sel:WORD_1
	v_add_f16_e32 v56, v90, v56
	v_mul_f16_e32 v150, 0xbbdd, v108
	v_mul_f16_e32 v152, 0xb461, v108
	v_mul_f16_e32 v108, 0x3b76, v108
	v_add_f16_e32 v47, v56, v47
	v_add_f16_e32 v56, v95, v104
	v_mul_f16_e32 v155, 0xbacd, v112
	v_mul_f16_e32 v157, 0x39e9, v112
	v_mul_f16_e32 v112, 0x3722, v112
	v_add_f16_e32 v47, v56, v47
	;; [unrolled: 5-line block ×4, first 2 shown]
	v_add_f16_e32 v56, v114, v119
	v_mul_f16_e32 v133, 0x3b76, v48
	v_mul_f16_e32 v134, 0x39e9, v48
	;; [unrolled: 1-line block ×7, first 2 shown]
	v_add_f16_e32 v47, v56, v47
	v_add_f16_e32 v56, v123, v128
	v_mul_f16_e32 v138, 0x39e9, v58
	v_mul_f16_e32 v139, 0x2de8, v58
	v_mul_f16_e32 v141, 0xb8d2, v58
	v_mul_f16_e32 v58, 0xbbdd, v58
	v_add_f16_e32 v47, v56, v47
	v_add_f16_e32 v56, v131, v129
	v_sub_f16_e32 v48, v48, v72
	v_sub_f16_e32 v51, v136, v51
	v_mul_f16_e32 v143, 0x3722, v61
	v_mul_f16_e32 v144, 0xb8d2, v61
	;; [unrolled: 1-line block ×4, first 2 shown]
	v_add_f16_e32 v47, v56, v47
	v_add_f16_e32 v48, v48, v0
	v_sub_f16_e32 v56, v58, v73
	v_add_f16_e32 v51, v51, v0
	v_sub_f16_e32 v52, v141, v52
	v_mul_f16_e32 v148, 0x2de8, v63
	v_mul_f16_e32 v149, 0xbbdd, v63
	v_mul_f16_e32 v151, 0xb461, v63
	v_mul_f16_e32 v63, 0x3b76, v63
	v_add_f16_e32 v48, v56, v48
	v_sub_f16_e32 v56, v61, v74
	v_add_f16_e32 v51, v52, v51
	v_sub_f16_e32 v52, v146, v54
	v_mul_f16_e32 v153, 0xb461, v66
	v_mul_f16_e32 v154, 0xbacd, v66
	v_mul_f16_e32 v156, 0x39e9, v66
	v_mul_f16_e32 v66, 0x3722, v66
	;; [unrolled: 8-line block ×5, first 2 shown]
	v_add_f16_e32 v48, v56, v48
	v_sub_f16_e32 v56, v70, v78
	v_add_f16_e32 v51, v52, v51
	v_sub_f16_e32 v52, v166, v67
	;; [unrolled: 2-line block ×4, first 2 shown]
	v_alignbit_b32 v173, v0, v0, 16
	v_add_f16_e32 v48, v56, v48
	v_add_f16_e32 v56, v85, v137
	;; [unrolled: 1-line block ×4, first 2 shown]
	v_sub_f16_e32 v46, v134, v46
	v_add_f16_sdwa v56, v56, v0 dst_sel:DWORD dst_unused:UNUSED_PAD src0_sel:DWORD src1_sel:WORD_1
	v_add_f16_e32 v58, v86, v142
	v_add_f16_sdwa v52, v52, v0 dst_sel:DWORD dst_unused:UNUSED_PAD src0_sel:DWORD src1_sel:WORD_1
	v_add_f16_e32 v0, v46, v0
	v_sub_f16_e32 v46, v139, v49
	v_pk_add_f16 v1, v1, v173 op_sel:[0,1] op_sel_hi:[1,0]
	v_add_f16_e32 v56, v58, v56
	v_add_f16_e32 v58, v92, v147
	v_add_f16_e32 v0, v46, v0
	v_sub_f16_e32 v46, v144, v50
	v_pk_add_f16 v1, v45, v1 op_sel:[1,0] op_sel_hi:[0,1]
	v_add_f16_e32 v56, v58, v56
	v_add_f16_e32 v58, v96, v152
	;; [unrolled: 1-line block ×3, first 2 shown]
	v_sub_f16_e32 v46, v149, v53
	v_pk_add_f16 v1, v20, v1
	v_add_f16_e32 v56, v58, v56
	v_add_f16_e32 v58, v101, v157
	;; [unrolled: 1-line block ×3, first 2 shown]
	v_sub_f16_e32 v46, v154, v55
	v_pk_add_f16 v1, v17, v1
	v_add_f16_e32 v56, v58, v56
	v_add_f16_e32 v58, v109, v162
	v_add_f16_e32 v54, v83, v140
	v_add_f16_e32 v0, v46, v0
	v_sub_f16_e32 v46, v159, v59
	v_pk_add_f16 v1, v18, v1
	v_add_f16_e32 v56, v58, v56
	v_add_f16_e32 v58, v115, v167
	;; [unrolled: 1-line block ×5, first 2 shown]
	v_sub_f16_e32 v46, v164, v62
	v_pk_add_f16 v1, v13, v1
	v_alignbit_b32 v94, v94, v94, 16
	v_add_f16_e32 v56, v58, v56
	v_add_f16_e32 v58, v172, v124
	;; [unrolled: 1-line block ×5, first 2 shown]
	v_sub_f16_e32 v46, v65, v169
	v_sub_f16_e32 v57, v133, v80
	v_pk_add_f16 v1, v14, v1
	v_alignbit_b32 v99, v99, v99, 16
	v_add_f16_e32 v56, v58, v56
	v_add_f16_e32 v52, v54, v52
	;; [unrolled: 1-line block ×4, first 2 shown]
	v_pk_add_f16 v46, v94, v118
	v_sub_f16_e32 v58, v138, v81
	v_pk_add_f16 v1, v2, v1
	v_perm_b32 v2, v57, v111, s8
	v_alignbit_b32 v106, v106, v106, 16
	v_add_f16_e32 v52, v54, v52
	v_add_f16_e32 v54, v102, v160
	v_add_f16_sdwa v49, v99, v120 dst_sel:DWORD dst_unused:UNUSED_PAD src0_sel:WORD_1 src1_sel:WORD_1
	v_sub_f16_e32 v59, v143, v84
	v_pk_add_f16 v1, v3, v1
	v_pk_add_f16 v2, v2, v173
	v_pack_b32_f16 v3, v46, v58
	v_alignbit_b32 v113, v113, v113, 16
	v_add_f16_e32 v52, v54, v52
	v_add_f16_e32 v54, v110, v165
	v_add_f16_sdwa v50, v106, v121 dst_sel:DWORD dst_unused:UNUSED_PAD src0_sel:WORD_1 src1_sel:WORD_1
	v_sub_f16_e32 v60, v148, v87
	v_pk_add_f16 v2, v3, v2
	v_pack_b32_f16 v3, v49, v59
	v_alignbit_b32 v122, v122, v122, 16
	v_add_f16_e32 v52, v54, v52
	v_add_f16_e32 v54, v170, v116
	v_add_f16_sdwa v53, v113, v125 dst_sel:DWORD dst_unused:UNUSED_PAD src0_sel:WORD_1 src1_sel:WORD_1
	v_sub_f16_e32 v61, v153, v91
	v_pk_add_f16 v2, v3, v2
	v_pack_b32_f16 v3, v50, v60
	v_alignbit_b32 v130, v130, v130, 16
	v_add_f16_e32 v52, v54, v52
	v_add_f16_sdwa v54, v122, v126 dst_sel:DWORD dst_unused:UNUSED_PAD src0_sel:WORD_1 src1_sel:WORD_1
	v_sub_f16_e32 v62, v158, v97
	v_pk_add_f16 v1, v15, v1
	v_pk_add_f16 v2, v3, v2
	v_pack_b32_f16 v3, v53, v61
	v_add_f16_sdwa v55, v130, v127 dst_sel:DWORD dst_unused:UNUSED_PAD src0_sel:WORD_1 src1_sel:WORD_1
	v_sub_f16_e32 v63, v163, v103
	v_pk_add_f16 v1, v16, v1
	v_pk_add_f16 v2, v3, v2
	v_pack_b32_f16 v3, v54, v62
	v_alignbit_b32 v132, v132, v132, 16
	v_pk_add_f16 v1, v21, v1
	v_pk_add_f16 v2, v3, v2
	v_pack_b32_f16 v3, v55, v63
	v_pk_add_f16 v1, v22, v1
	v_pk_add_f16 v2, v3, v2
	v_bfi_b32 v3, s9, v168, v132
	v_pk_add_f16 v1, v23, v1
	v_pk_add_f16 v3, v105, v3 neg_lo:[0,1] neg_hi:[0,1]
	v_pk_add_f16 v13, v117, v132
	v_pk_add_f16 v1, v41, v1 op_sel:[1,0] op_sel_hi:[0,1]
	v_bfi_b32 v3, s9, v3, v13
	v_add_lshl_u32 v17, v28, v24, 2
	v_pk_add_f16 v1, v42, v1
	v_pk_add_f16 v2, v3, v2 op_sel:[0,1] op_sel_hi:[1,0]
	ds_write2_b32 v17, v1, v2 offset1:1
	v_pack_b32_f16 v1, v51, v56
	v_pack_b32_f16 v0, v0, v52
	ds_write2_b32 v17, v0, v1 offset0:2 offset1:3
	v_pack_b32_f16 v0, v48, v47
	v_perm_b32 v1, v30, v19, s8
	ds_write2_b32 v17, v0, v1 offset0:4 offset1:5
	v_perm_b32 v0, v32, v10, s8
	v_perm_b32 v1, v31, v9, s8
	ds_write2_b32 v17, v1, v0 offset0:6 offset1:7
	v_alignbit_b32 v0, v44, v43, 16
	v_alignbit_b32 v1, v43, v40, 16
	ds_write2_b32 v17, v1, v0 offset0:8 offset1:9
	v_perm_b32 v0, v38, v12, s8
	v_perm_b32 v1, v37, v11, s8
	ds_write2_b32 v17, v1, v0 offset0:10 offset1:11
	v_perm_b32 v0, v35, v8, s8
	v_perm_b32 v1, v39, v7, s8
	;; [unrolled: 3-line block ×3, first 2 shown]
	ds_write2_b32 v17, v1, v0 offset0:14 offset1:15
	v_perm_b32 v0, v40, v36, s8
	ds_write_b32 v17, v0 offset:64
.LBB0_7:
	s_or_b64 exec, exec, s[4:5]
	v_lshlrev_b32_e32 v0, 4, v25
	s_load_dwordx4 s[8:11], s[2:3], 0x0
	s_waitcnt lgkmcnt(0)
	s_barrier
	global_load_dwordx4 v[0:3], v0, s[0:1]
	v_add_lshl_u32 v17, v28, v25, 2
	ds_read2_b32 v[13:14], v17 offset1:17
	ds_read2_b32 v[15:16], v17 offset0:34 offset1:51
	ds_read_b32 v18, v17 offset:272
	s_movk_i32 s0, 0x3b9c
	s_mov_b32 s3, 0xbb9c
	s_waitcnt lgkmcnt(2)
	v_lshrrev_b32_e32 v21, 16, v14
	s_waitcnt lgkmcnt(1)
	v_lshrrev_b32_e32 v22, 16, v15
	v_lshrrev_b32_e32 v23, 16, v16
	s_waitcnt lgkmcnt(0)
	v_lshrrev_b32_e32 v41, 16, v18
	v_lshrrev_b32_e32 v20, 16, v13
	s_movk_i32 s1, 0x38b4
	s_mov_b32 s4, 0xb8b4
	s_movk_i32 s2, 0x34f2
	s_waitcnt vmcnt(0)
	v_mul_f16_sdwa v42, v21, v0 dst_sel:DWORD dst_unused:UNUSED_PAD src0_sel:DWORD src1_sel:WORD_1
	v_mul_f16_sdwa v45, v14, v0 dst_sel:DWORD dst_unused:UNUSED_PAD src0_sel:DWORD src1_sel:WORD_1
	;; [unrolled: 1-line block ×8, first 2 shown]
	v_fma_f16 v14, v14, v0, -v42
	v_fma_f16 v21, v21, v0, v45
	v_fma_f16 v15, v15, v1, -v46
	v_fma_f16 v22, v22, v1, v47
	;; [unrolled: 2-line block ×4, first 2 shown]
	v_add_f16_e32 v42, v13, v14
	v_add_f16_e32 v45, v15, v16
	v_sub_f16_e32 v48, v14, v15
	v_sub_f16_e32 v49, v18, v16
	v_add_f16_e32 v53, v20, v21
	v_add_f16_e32 v54, v22, v23
	v_sub_f16_e32 v46, v21, v41
	v_sub_f16_e32 v47, v22, v23
	v_add_f16_e32 v50, v14, v18
	v_sub_f16_e32 v51, v15, v14
	v_sub_f16_e32 v52, v16, v18
	;; [unrolled: 1-line block ×6, first 2 shown]
	v_add_f16_e32 v58, v21, v41
	v_sub_f16_e32 v21, v22, v21
	v_add_f16_e32 v15, v42, v15
	v_fma_f16 v42, v45, -0.5, v13
	v_add_f16_e32 v45, v48, v49
	v_add_f16_e32 v22, v53, v22
	v_fma_f16 v49, v54, -0.5, v20
	v_fma_f16 v13, v50, -0.5, v13
	v_add_f16_e32 v48, v51, v52
	v_add_f16_e32 v50, v14, v57
	v_fma_f16 v20, v58, -0.5, v20
	v_add_f16_e32 v14, v15, v16
	v_fma_f16 v15, v46, s0, v42
	v_add_f16_e32 v22, v22, v23
	v_fma_f16 v52, v55, s3, v49
	v_sub_f16_e32 v59, v23, v41
	v_fma_f16 v16, v46, s3, v42
	v_fma_f16 v42, v47, s3, v13
	;; [unrolled: 1-line block ×5, first 2 shown]
	v_add_f16_e32 v13, v14, v18
	v_fma_f16 v14, v47, s1, v15
	v_add_f16_e32 v23, v22, v41
	v_fma_f16 v22, v56, s4, v52
	v_fma_f16 v20, v56, s3, v20
	v_add_f16_e32 v21, v21, v59
	v_fma_f16 v15, v47, s4, v16
	v_fma_f16 v16, v46, s1, v42
	;; [unrolled: 1-line block ×14, first 2 shown]
	v_lshl_add_u32 v22, v25, 2, v29
	v_pack_b32_f16 v20, v13, v23
	v_pack_b32_f16 v21, v14, v41
	ds_write2_b32 v22, v20, v21 offset1:17
	v_pack_b32_f16 v20, v15, v42
	v_pack_b32_f16 v21, v16, v46
	ds_write2_b32 v22, v20, v21 offset0:34 offset1:51
	v_pack_b32_f16 v20, v18, v45
	ds_write_b32 v22, v20 offset:272
	s_waitcnt lgkmcnt(0)
	s_barrier
	s_and_saveexec_b64 s[0:1], vcc
	s_cbranch_execz .LBB0_9
; %bb.8:
	global_load_dword v57, v26, s[6:7] offset:340
	s_add_u32 s2, s6, 0x154
	s_addc_u32 s3, s7, 0
	global_load_dword v58, v26, s[2:3] offset:20
	global_load_dword v59, v26, s[2:3] offset:40
	;; [unrolled: 1-line block ×10, first 2 shown]
	ds_read2_b32 v[20:21], v22 offset1:5
	ds_read2_b32 v[47:48], v22 offset0:10 offset1:15
	ds_read2_b32 v[49:50], v22 offset0:20 offset1:25
	;; [unrolled: 1-line block ×3, first 2 shown]
	global_load_dword v68, v26, s[2:3] offset:220
	ds_read2_b32 v[53:54], v22 offset0:40 offset1:45
	ds_read2_b32 v[55:56], v22 offset0:50 offset1:55
	global_load_dword v69, v26, s[2:3] offset:240
	global_load_dword v70, v26, s[2:3] offset:260
	;; [unrolled: 1-line block ×5, first 2 shown]
	s_waitcnt lgkmcnt(5)
	v_lshrrev_b32_e32 v74, 16, v20
	v_lshrrev_b32_e32 v75, 16, v21
	s_waitcnt lgkmcnt(4)
	v_lshrrev_b32_e32 v76, 16, v47
	v_lshrrev_b32_e32 v77, 16, v48
	;; [unrolled: 3-line block ×5, first 2 shown]
	s_waitcnt vmcnt(13)
	v_mul_f16_sdwa v86, v77, v60 dst_sel:DWORD dst_unused:UNUSED_PAD src0_sel:DWORD src1_sel:WORD_1
	v_mul_f16_sdwa v87, v48, v60 dst_sel:DWORD dst_unused:UNUSED_PAD src0_sel:DWORD src1_sel:WORD_1
	s_waitcnt vmcnt(12)
	v_mul_f16_sdwa v88, v78, v61 dst_sel:DWORD dst_unused:UNUSED_PAD src0_sel:DWORD src1_sel:WORD_1
	v_mul_f16_sdwa v89, v49, v61 dst_sel:DWORD dst_unused:UNUSED_PAD src0_sel:DWORD src1_sel:WORD_1
	;; [unrolled: 1-line block ×4, first 2 shown]
	v_fma_f16 v20, v20, v57, -v84
	v_fma_f16 v57, v74, v57, v85
	v_pack_b32_f16 v20, v20, v57
	v_mul_f16_sdwa v57, v75, v58 dst_sel:DWORD dst_unused:UNUSED_PAD src0_sel:DWORD src1_sel:WORD_1
	v_mul_f16_sdwa v74, v21, v58 dst_sel:DWORD dst_unused:UNUSED_PAD src0_sel:DWORD src1_sel:WORD_1
	;; [unrolled: 1-line block ×4, first 2 shown]
	s_waitcnt vmcnt(11)
	v_mul_f16_sdwa v90, v79, v62 dst_sel:DWORD dst_unused:UNUSED_PAD src0_sel:DWORD src1_sel:WORD_1
	v_mul_f16_sdwa v91, v50, v62 dst_sel:DWORD dst_unused:UNUSED_PAD src0_sel:DWORD src1_sel:WORD_1
	s_waitcnt vmcnt(10)
	v_mul_f16_sdwa v92, v80, v63 dst_sel:DWORD dst_unused:UNUSED_PAD src0_sel:DWORD src1_sel:WORD_1
	v_mul_f16_sdwa v93, v51, v63 dst_sel:DWORD dst_unused:UNUSED_PAD src0_sel:DWORD src1_sel:WORD_1
	s_waitcnt vmcnt(9)
	v_mul_f16_sdwa v94, v81, v64 dst_sel:DWORD dst_unused:UNUSED_PAD src0_sel:DWORD src1_sel:WORD_1
	v_mul_f16_sdwa v95, v52, v64 dst_sel:DWORD dst_unused:UNUSED_PAD src0_sel:DWORD src1_sel:WORD_1
	v_fma_f16 v21, v21, v58, -v57
	v_fma_f16 v57, v75, v58, v74
	v_fma_f16 v47, v47, v59, -v84
	v_fma_f16 v58, v76, v59, v85
	;; [unrolled: 2-line block ×7, first 2 shown]
	v_pack_b32_f16 v21, v21, v57
	s_waitcnt vmcnt(8)
	v_mul_f16_sdwa v96, v82, v65 dst_sel:DWORD dst_unused:UNUSED_PAD src0_sel:DWORD src1_sel:WORD_1
	v_mul_f16_sdwa v97, v53, v65 dst_sel:DWORD dst_unused:UNUSED_PAD src0_sel:DWORD src1_sel:WORD_1
	s_waitcnt vmcnt(7)
	v_mul_f16_sdwa v98, v83, v66 dst_sel:DWORD dst_unused:UNUSED_PAD src0_sel:DWORD src1_sel:WORD_1
	v_pack_b32_f16 v47, v47, v58
	v_pack_b32_f16 v48, v48, v59
	;; [unrolled: 1-line block ×6, first 2 shown]
	ds_write2_b32 v22, v20, v21 offset1:5
	ds_write2_b32 v22, v47, v48 offset0:10 offset1:15
	ds_write2_b32 v22, v49, v50 offset0:20 offset1:25
	;; [unrolled: 1-line block ×3, first 2 shown]
	v_mul_f16_sdwa v20, v54, v66 dst_sel:DWORD dst_unused:UNUSED_PAD src0_sel:DWORD src1_sel:WORD_1
	v_fma_f16 v53, v53, v65, -v96
	v_fma_f16 v64, v82, v65, v97
	v_fma_f16 v65, v54, v66, -v98
	v_fma_f16 v20, v83, v66, v20
	v_pack_b32_f16 v53, v53, v64
	v_pack_b32_f16 v20, v65, v20
	ds_write2_b32 v22, v53, v20 offset0:40 offset1:45
	s_waitcnt lgkmcnt(5)
	v_lshrrev_b32_e32 v20, 16, v55
	s_waitcnt vmcnt(6)
	v_mul_f16_sdwa v21, v20, v67 dst_sel:DWORD dst_unused:UNUSED_PAD src0_sel:DWORD src1_sel:WORD_1
	v_mul_f16_sdwa v47, v55, v67 dst_sel:DWORD dst_unused:UNUSED_PAD src0_sel:DWORD src1_sel:WORD_1
	v_fma_f16 v21, v55, v67, -v21
	v_fma_f16 v20, v20, v67, v47
	v_lshrrev_b32_e32 v48, 16, v56
	v_pack_b32_f16 v47, v21, v20
	s_waitcnt vmcnt(5)
	v_mul_f16_sdwa v20, v48, v68 dst_sel:DWORD dst_unused:UNUSED_PAD src0_sel:DWORD src1_sel:WORD_1
	v_fma_f16 v49, v56, v68, -v20
	ds_read2_b32 v[20:21], v22 offset0:60 offset1:65
	v_mul_f16_sdwa v50, v56, v68 dst_sel:DWORD dst_unused:UNUSED_PAD src0_sel:DWORD src1_sel:WORD_1
	v_fma_f16 v48, v48, v68, v50
	v_pack_b32_f16 v48, v49, v48
	ds_write2_b32 v22, v47, v48 offset0:50 offset1:55
	s_waitcnt lgkmcnt(1)
	v_lshrrev_b32_e32 v47, 16, v20
	s_waitcnt vmcnt(4)
	v_mul_f16_sdwa v48, v47, v69 dst_sel:DWORD dst_unused:UNUSED_PAD src0_sel:DWORD src1_sel:WORD_1
	v_fma_f16 v48, v20, v69, -v48
	v_mul_f16_sdwa v20, v20, v69 dst_sel:DWORD dst_unused:UNUSED_PAD src0_sel:DWORD src1_sel:WORD_1
	v_lshrrev_b32_e32 v49, 16, v21
	v_fma_f16 v20, v47, v69, v20
	s_waitcnt vmcnt(3)
	v_mul_f16_sdwa v47, v49, v70 dst_sel:DWORD dst_unused:UNUSED_PAD src0_sel:DWORD src1_sel:WORD_1
	v_pack_b32_f16 v20, v48, v20
	v_fma_f16 v50, v21, v70, -v47
	ds_read2_b32 v[47:48], v22 offset0:70 offset1:75
	v_mul_f16_sdwa v21, v21, v70 dst_sel:DWORD dst_unused:UNUSED_PAD src0_sel:DWORD src1_sel:WORD_1
	v_fma_f16 v21, v49, v70, v21
	v_pack_b32_f16 v21, v50, v21
	ds_write2_b32 v22, v20, v21 offset0:60 offset1:65
	s_waitcnt lgkmcnt(1)
	v_lshrrev_b32_e32 v20, 16, v47
	s_waitcnt vmcnt(2)
	v_mul_f16_sdwa v21, v20, v71 dst_sel:DWORD dst_unused:UNUSED_PAD src0_sel:DWORD src1_sel:WORD_1
	v_fma_f16 v21, v47, v71, -v21
	v_mul_f16_sdwa v47, v47, v71 dst_sel:DWORD dst_unused:UNUSED_PAD src0_sel:DWORD src1_sel:WORD_1
	v_fma_f16 v20, v20, v71, v47
	v_pack_b32_f16 v20, v21, v20
	v_lshrrev_b32_e32 v21, 16, v48
	ds_read_b32 v49, v22 offset:320
	s_waitcnt vmcnt(1)
	v_mul_f16_sdwa v47, v21, v72 dst_sel:DWORD dst_unused:UNUSED_PAD src0_sel:DWORD src1_sel:WORD_1
	v_fma_f16 v47, v48, v72, -v47
	v_mul_f16_sdwa v48, v48, v72 dst_sel:DWORD dst_unused:UNUSED_PAD src0_sel:DWORD src1_sel:WORD_1
	v_fma_f16 v21, v21, v72, v48
	v_pack_b32_f16 v21, v47, v21
	ds_write2_b32 v22, v20, v21 offset0:70 offset1:75
	s_waitcnt lgkmcnt(1)
	v_lshrrev_b32_e32 v20, 16, v49
	s_waitcnt vmcnt(0)
	v_mul_f16_sdwa v21, v20, v73 dst_sel:DWORD dst_unused:UNUSED_PAD src0_sel:DWORD src1_sel:WORD_1
	v_mul_f16_sdwa v47, v49, v73 dst_sel:DWORD dst_unused:UNUSED_PAD src0_sel:DWORD src1_sel:WORD_1
	v_fma_f16 v21, v49, v73, -v21
	v_fma_f16 v20, v20, v73, v47
	v_pack_b32_f16 v20, v21, v20
	ds_write_b32 v22, v20 offset:320
.LBB0_9:
	s_or_b64 exec, exec, s[0:1]
	v_lshrrev_b32_e32 v21, 16, v43
	s_waitcnt lgkmcnt(0)
	s_barrier
	s_and_saveexec_b64 s[0:1], vcc
	s_cbranch_execz .LBB0_11
; %bb.10:
	ds_read2_b32 v[13:14], v22 offset1:5
	ds_read2_b32 v[15:16], v22 offset0:10 offset1:15
	ds_read2_b32 v[18:19], v22 offset0:20 offset1:25
	;; [unrolled: 1-line block ×7, first 2 shown]
	ds_read_b32 v36, v22 offset:320
	s_waitcnt lgkmcnt(8)
	v_lshrrev_b32_e32 v23, 16, v13
	v_lshrrev_b32_e32 v41, 16, v14
	s_waitcnt lgkmcnt(7)
	v_lshrrev_b32_e32 v42, 16, v15
	v_lshrrev_b32_e32 v46, 16, v16
	;; [unrolled: 3-line block ×8, first 2 shown]
	s_waitcnt lgkmcnt(0)
	v_alignbit_b32 v40, v20, v36, 16
.LBB0_11:
	s_or_b64 exec, exec, s[0:1]
	s_barrier
	s_and_saveexec_b64 s[0:1], vcc
	s_cbranch_execz .LBB0_13
; %bb.12:
	v_add_f16_e32 v68, v40, v41
	v_mul_f16_e32 v69, 0xbbdd, v68
	v_sub_f16_e32 v20, v14, v36
	s_movk_i32 s23, 0x31e1
	v_fma_f16 v47, v20, s23, v69
	v_add_f16_e32 v70, v33, v42
	v_add_f16_e32 v48, v23, v47
	v_mul_f16_e32 v71, 0x3b76, v70
	v_sub_f16_e32 v47, v15, v6
	s_mov_b32 s15, 0xb5c8
	v_fma_f16 v49, v47, s15, v71
	v_add_f16_e32 v72, v34, v46
	v_add_f16_e32 v48, v49, v48
	v_mul_f16_e32 v73, 0xbacd, v72
	v_sub_f16_e32 v49, v16, v5
	s_movk_i32 s21, 0x3836
	v_fma_f16 v50, v49, s21, v73
	v_add_f16_e32 v74, v35, v45
	v_add_f16_e32 v48, v50, v48
	v_mul_f16_e32 v75, 0x39e9, v74
	v_sub_f16_e32 v50, v18, v8
	s_mov_b32 s18, 0xb964
	v_fma_f16 v51, v50, s18, v75
	v_add_f16_e32 v76, v39, v30
	;; [unrolled: 12-line block ×3, first 2 shown]
	v_add_f16_e32 v48, v53, v48
	v_mul_f16_e32 v81, 0xb461, v80
	v_sub_f16_e32 v53, v10, v11
	s_movk_i32 s24, 0x3bb2
	v_fma_f16 v54, v53, s24, v81
	v_sub_f16_sdwa v82, v40, v21 dst_sel:DWORD dst_unused:UNUSED_PAD src0_sel:WORD_1 src1_sel:DWORD
	v_add_f16_e32 v48, v54, v48
	v_add_f16_e32 v54, v43, v44
	v_mul_f16_e32 v83, 0x3bf7, v82
	s_movk_i32 s19, 0x2de8
	v_fma_f16 v55, v54, s19, -v83
	v_sub_f16_e32 v84, v41, v40
	s_mov_b32 s2, 0xbbdd
	v_add_f16_e32 v48, v55, v48
	v_add_f16_e32 v55, v36, v14
	v_mul_f16_e32 v85, 0xb1e1, v84
	v_fma_f16 v56, v55, s2, v85
	v_sub_f16_e32 v86, v42, v33
	s_movk_i32 s4, 0x3b76
	v_add_f16_e32 v57, v13, v56
	v_add_f16_e32 v56, v6, v15
	v_mul_f16_e32 v87, 0x35c8, v86
	v_fma_f16 v58, v56, s4, v87
	v_sub_f16_e32 v88, v46, v34
	s_mov_b32 s3, 0xbacd
	v_add_f16_e32 v58, v58, v57
	v_add_f16_e32 v57, v5, v16
	v_mul_f16_e32 v89, 0xb836, v88
	v_fma_f16 v59, v57, s3, v89
	v_sub_f16_e32 v90, v45, v35
	s_movk_i32 s14, 0x39e9
	v_add_f16_e32 v59, v59, v58
	v_add_f16_e32 v58, v8, v18
	v_mul_f16_e32 v91, 0x3964, v90
	v_fma_f16 v60, v58, s14, v91
	;; [unrolled: 12-line block ×3, first 2 shown]
	v_sub_f16_e32 v96, v32, v37
	s_mov_b32 s17, 0xb461
	v_add_f16_e32 v60, v62, v60
	v_add_f16_e32 v62, v11, v10
	v_mul_f16_e32 v97, 0xbbb2, v96
	v_fma_f16 v63, v62, s17, v97
	v_sub_f16_e32 v98, v43, v44
	v_add_f16_e32 v60, v63, v60
	v_add_f16_sdwa v63, v40, v21 dst_sel:DWORD dst_unused:UNUSED_PAD src0_sel:WORD_1 src1_sel:DWORD
	v_mul_f16_e32 v99, 0x3bf7, v98
	v_fma_f16 v64, v63, s19, v99
	v_mul_f16_e32 v100, 0xbacd, v68
	v_add_f16_e32 v60, v64, v60
	v_fma_f16 v64, v20, s21, v100
	v_mul_f16_e32 v101, 0x3722, v70
	s_movk_i32 s34, 0x3bf7
	v_add_f16_e32 v64, v23, v64
	v_fma_f16 v65, v47, s20, v101
	v_mul_f16_e32 v102, 0x2de8, v72
	s_mov_b32 s25, 0xba62
	v_add_f16_e32 v64, v65, v64
	v_fma_f16 v65, v49, s34, v102
	v_mul_f16_e32 v103, 0xb8d2, v74
	s_movk_i32 s33, 0x35c8
	v_add_f16_e32 v64, v65, v64
	v_fma_f16 v65, v50, s25, v103
	v_mul_f16_e32 v104, 0x3b76, v76
	v_add_f16_e32 v64, v65, v64
	v_fma_f16 v65, v51, s33, v104
	v_mul_f16_e32 v105, 0xbbdd, v78
	;; [unrolled: 3-line block ×4, first 2 shown]
	v_add_f16_e32 v64, v65, v64
	v_fma_f16 v65, v54, s17, -v107
	v_mul_f16_e32 v108, 0xb836, v84
	v_add_f16_e32 v64, v65, v64
	v_fma_f16 v65, v55, s3, v108
	v_mul_f16_e32 v109, 0x3b29, v86
	v_add_f16_e32 v65, v13, v65
	v_fma_f16 v66, v56, s16, v109
	;; [unrolled: 3-line block ×8, first 2 shown]
	v_mul_f16_e32 v116, 0xb8d2, v68
	s_mov_b32 s27, 0xbbb2
	v_add_f16_e32 v65, v66, v65
	v_fma_f16 v66, v20, s29, v116
	v_mul_f16_e32 v117, 0xb461, v70
	v_add_f16_e32 v66, v23, v66
	v_fma_f16 v67, v47, s27, v117
	v_mul_f16_e32 v118, 0x3b76, v72
	;; [unrolled: 3-line block ×3, first 2 shown]
	s_mov_b32 s30, 0xbbf7
	v_add_f16_e32 v66, v67, v66
	v_fma_f16 v67, v50, s21, v119
	v_mul_f16_e32 v120, 0x2de8, v76
	s_movk_i32 s31, 0x3964
	v_add_f16_e32 v66, v67, v66
	v_fma_f16 v67, v51, s30, v120
	v_mul_f16_e32 v121, 0x39e9, v78
	v_add_f16_e32 v66, v67, v66
	v_fma_f16 v67, v52, s31, v121
	v_mul_f16_e32 v122, 0xbbdd, v80
	;; [unrolled: 3-line block ×3, first 2 shown]
	v_add_f16_e32 v66, v67, v66
	v_fma_f16 v67, v54, s16, -v123
	v_mul_f16_e32 v124, 0xba62, v84
	v_add_f16_e32 v66, v67, v66
	v_fma_f16 v67, v55, s5, v124
	v_mul_f16_e32 v125, 0x3bb2, v86
	v_add_f16_e32 v67, v13, v67
	v_fma_f16 v126, v56, s17, v125
	v_add_f16_e32 v67, v126, v67
	v_mul_f16_e32 v126, 0xb5c8, v88
	v_fma_f16 v127, v57, s4, v126
	v_add_f16_e32 v67, v127, v67
	v_mul_f16_e32 v127, 0xb836, v90
	;; [unrolled: 3-line block ×7, first 2 shown]
	s_mov_b32 s22, 0xb836
	v_fma_f16 v133, v20, s24, v132
	v_mul_f16_e32 v134, 0xbacd, v70
	v_add_f16_e32 v133, v23, v133
	v_fma_f16 v135, v47, s22, v134
	v_add_f16_e32 v133, v135, v133
	v_mul_f16_e32 v135, 0x39e9, v72
	v_fma_f16 v136, v49, s18, v135
	s_movk_i32 s28, 0x3b29
	v_add_f16_e32 v133, v136, v133
	v_mul_f16_e32 v136, 0x3722, v74
	v_fma_f16 v137, v50, s28, v136
	v_add_f16_e32 v133, v137, v133
	v_mul_f16_e32 v137, 0xbbdd, v76
	v_fma_f16 v138, v51, s23, v137
	;; [unrolled: 3-line block ×4, first 2 shown]
	v_add_f16_e32 v14, v14, v13
	v_add_f16_e32 v133, v140, v133
	v_mul_f16_e32 v140, 0xba62, v82
	v_add_f16_e32 v14, v15, v14
	v_fma_f16 v141, v54, s5, -v140
	v_add_f16_e32 v14, v16, v14
	v_add_f16_e32 v133, v141, v133
	v_mul_f16_e32 v141, 0xbbb2, v84
	v_add_f16_e32 v14, v18, v14
	v_fma_f16 v142, v55, s17, v141
	v_mul_f16_e32 v143, 0x3836, v86
	v_add_f16_e32 v14, v19, v14
	v_add_f16_e32 v142, v13, v142
	v_fma_f16 v144, v56, s3, v143
	v_add_f16_e32 v9, v9, v14
	v_add_f16_e32 v142, v144, v142
	v_mul_f16_e32 v144, 0x3964, v88
	v_add_f16_e32 v9, v10, v9
	v_fma_f16 v145, v57, s14, v144
	v_add_f16_sdwa v9, v40, v9 dst_sel:DWORD dst_unused:UNUSED_PAD src0_sel:WORD_1 src1_sel:DWORD
	v_add_f16_e32 v142, v145, v142
	v_mul_f16_e32 v145, 0xbb29, v90
	v_add_f16_e32 v9, v21, v9
	v_fma_f16 v146, v58, s16, v145
	v_add_f16_e32 v9, v11, v9
	v_add_f16_e32 v142, v146, v142
	v_mul_f16_e32 v146, 0xb1e1, v92
	v_add_f16_e32 v9, v12, v9
	v_fma_f16 v147, v59, s2, v146
	v_add_f16_e32 v7, v7, v9
	s_mov_b32 s26, 0xb1e1
	v_add_f16_e32 v142, v147, v142
	v_mul_f16_e32 v147, 0x3bf7, v94
	v_add_f16_e32 v7, v8, v7
	v_fma_f16 v148, v61, s19, v147
	v_add_f16_e32 v5, v5, v7
	v_fma_f16 v7, v20, s26, v69
	v_add_f16_e32 v142, v148, v142
	v_mul_f16_e32 v148, 0xb5c8, v96
	v_add_f16_e32 v7, v23, v7
	v_fma_f16 v8, v47, s33, v71
	v_fma_f16 v149, v62, s4, v148
	v_add_f16_e32 v7, v8, v7
	v_fma_f16 v8, v49, s22, v73
	v_add_f16_e32 v142, v149, v142
	v_mul_f16_e32 v149, 0xba62, v98
	v_add_f16_e32 v7, v8, v7
	v_fma_f16 v8, v50, s31, v75
	;; [unrolled: 7-line block ×3, first 2 shown]
	v_fma_f16 v151, v20, s34, v150
	v_mul_f16_e32 v152, 0xbbdd, v70
	v_add_f16_e32 v7, v8, v7
	v_fma_f16 v8, v53, s27, v81
	v_add_f16_e32 v151, v23, v151
	v_fma_f16 v153, v47, s23, v152
	;; [unrolled: 2-line block ×3, first 2 shown]
	v_add_f16_e32 v151, v153, v151
	v_mul_f16_e32 v153, 0xb461, v72
	v_add_f16_e32 v7, v8, v7
	v_fma_f16 v8, v55, s2, -v85
	v_fma_f16 v154, v49, s27, v153
	v_add_f16_e32 v8, v13, v8
	v_fma_f16 v9, v56, s4, -v87
	v_add_f16_e32 v151, v154, v151
	v_mul_f16_e32 v154, 0x3b76, v74
	v_add_f16_e32 v8, v9, v8
	v_fma_f16 v9, v57, s3, -v89
	v_fma_f16 v155, v50, s15, v154
	v_add_f16_e32 v8, v9, v8
	v_fma_f16 v9, v58, s14, -v91
	;; [unrolled: 7-line block ×4, first 2 shown]
	v_add_f16_e32 v151, v157, v151
	v_mul_f16_e32 v157, 0xb8d2, v80
	v_add_f16_e32 v8, v9, v8
	v_fma_f16 v9, v20, s22, v100
	v_fma_f16 v158, v53, s25, v157
	v_add_f16_e32 v9, v23, v9
	v_fma_f16 v10, v47, s28, v101
	v_add_f16_e32 v151, v158, v151
	v_mul_f16_e32 v158, 0x3964, v82
	v_add_f16_e32 v9, v10, v9
	v_fma_f16 v10, v49, s30, v102
	v_fma_f16 v159, v54, s14, -v158
	v_add_f16_e32 v9, v10, v9
	v_fma_f16 v10, v50, s29, v103
	v_add_f16_e32 v151, v159, v151
	v_mul_f16_e32 v159, 0xbbf7, v84
	v_add_f16_e32 v9, v10, v9
	v_fma_f16 v10, v51, s15, v104
	v_fma_f16 v160, v55, s19, v159
	v_mul_f16_e32 v161, 0xb1e1, v86
	v_add_f16_e32 v9, v10, v9
	v_fma_f16 v10, v52, s26, v105
	v_add_f16_e32 v160, v13, v160
	v_fma_f16 v162, v56, s2, v161
	;; [unrolled: 2-line block ×3, first 2 shown]
	v_add_f16_e32 v160, v162, v160
	v_mul_f16_e32 v162, 0x3bb2, v88
	v_add_f16_e32 v9, v10, v9
	v_fma_f16 v10, v54, s17, v107
	v_fma_f16 v163, v57, s17, v162
	v_add_f16_e32 v9, v10, v9
	v_fma_f16 v10, v55, s3, -v108
	v_add_f16_e32 v160, v163, v160
	v_mul_f16_e32 v163, 0x35c8, v90
	v_add_f16_e32 v10, v13, v10
	v_fma_f16 v11, v56, s16, -v109
	v_fma_f16 v164, v58, s4, v163
	v_add_f16_e32 v10, v11, v10
	v_fma_f16 v11, v57, s19, -v110
	v_add_f16_e32 v160, v164, v160
	v_mul_f16_e32 v164, 0xbb29, v92
	v_add_f16_e32 v10, v11, v10
	v_fma_f16 v11, v58, s5, -v111
	v_fma_f16 v165, v59, s16, v164
	v_add_f16_e32 v10, v11, v10
	v_fma_f16 v11, v59, s4, -v112
	v_add_f16_e32 v160, v165, v160
	v_mul_f16_e32 v165, 0xb836, v94
	v_add_f16_e32 v10, v11, v10
	v_fma_f16 v11, v61, s2, -v113
	v_fma_f16 v166, v61, s3, v165
	v_add_f16_e32 v10, v11, v10
	v_fma_f16 v11, v62, s14, -v114
	v_add_f16_e32 v160, v166, v160
	v_mul_f16_e32 v166, 0x3a62, v96
	v_add_f16_e32 v10, v11, v10
	v_fma_f16 v11, v63, s17, -v115
	v_fma_f16 v167, v62, s5, v166
	v_add_f16_e32 v10, v11, v10
	v_fma_f16 v11, v20, s25, v116
	v_add_f16_e32 v160, v167, v160
	v_mul_f16_e32 v167, 0x3964, v98
	v_add_f16_e32 v11, v23, v11
	v_fma_f16 v12, v47, s24, v117
	v_fma_f16 v168, v63, s14, v167
	v_add_f16_e32 v11, v12, v11
	v_fma_f16 v12, v49, s15, v118
	v_add_f16_e32 v160, v168, v160
	v_mul_f16_e32 v168, 0x3722, v68
	v_add_f16_e32 v11, v12, v11
	v_fma_f16 v12, v50, s22, v119
	v_fma_f16 v169, v20, s28, v168
	v_mul_f16_e32 v170, 0xb8d2, v70
	v_add_f16_e32 v11, v12, v11
	v_fma_f16 v12, v51, s34, v120
	v_add_f16_e32 v169, v23, v169
	v_fma_f16 v171, v47, s29, v170
	;; [unrolled: 2-line block ×3, first 2 shown]
	v_add_f16_e32 v169, v171, v169
	v_mul_f16_e32 v171, 0xbbdd, v72
	v_add_f16_e32 v11, v12, v11
	v_fma_f16 v12, v53, s26, v122
	v_fma_f16 v172, v49, s26, v171
	v_add_f16_e32 v11, v12, v11
	v_fma_f16 v12, v54, s16, v123
	v_add_f16_e32 v169, v172, v169
	v_mul_f16_e32 v172, 0xb461, v74
	v_add_f16_e32 v11, v12, v11
	v_fma_f16 v12, v55, s5, -v124
	v_fma_f16 v173, v50, s27, v172
	v_add_f16_e32 v12, v13, v12
	v_fma_f16 v14, v56, s17, -v125
	v_add_f16_e32 v169, v173, v169
	v_mul_f16_e32 v173, 0x39e9, v76
	v_add_f16_e32 v12, v14, v12
	v_fma_f16 v14, v57, s4, -v126
	v_fma_f16 v174, v51, s18, v173
	v_add_f16_e32 v12, v14, v12
	v_fma_f16 v14, v58, s3, -v127
	;; [unrolled: 7-line block ×4, first 2 shown]
	v_add_f16_e32 v169, v176, v169
	v_mul_f16_e32 v176, 0xb836, v82
	v_add_f16_e32 v12, v14, v12
	v_fma_f16 v14, v20, s27, v132
	v_fma_f16 v177, v54, s3, -v176
	v_add_f16_e32 v14, v23, v14
	v_fma_f16 v15, v47, s21, v134
	v_add_f16_e32 v169, v177, v169
	v_mul_f16_e32 v177, 0xbb29, v84
	v_add_f16_e32 v14, v15, v14
	v_fma_f16 v15, v49, s31, v135
	v_fma_f16 v178, v55, s16, v177
	v_mul_f16_e32 v179, 0xba62, v86
	v_add_f16_e32 v14, v15, v14
	v_fma_f16 v15, v50, s20, v136
	v_add_f16_e32 v178, v13, v178
	v_fma_f16 v180, v56, s5, v179
	;; [unrolled: 2-line block ×3, first 2 shown]
	v_add_f16_e32 v178, v180, v178
	v_mul_f16_e32 v180, 0x31e1, v88
	v_add_f16_e32 v14, v15, v14
	v_fma_f16 v15, v52, s34, v138
	v_fma_f16 v181, v57, s2, v180
	v_add_f16_e32 v14, v15, v14
	v_fma_f16 v15, v53, s15, v139
	v_add_f16_e32 v178, v181, v178
	v_mul_f16_e32 v181, 0x3bb2, v90
	v_add_f16_e32 v14, v15, v14
	v_fma_f16 v15, v54, s5, v140
	v_fma_f16 v182, v58, s17, v181
	v_add_f16_e32 v14, v15, v14
	v_fma_f16 v15, v55, s17, -v141
	v_add_f16_e32 v178, v182, v178
	v_mul_f16_e32 v182, 0x3964, v92
	v_add_f16_e32 v15, v13, v15
	v_fma_f16 v16, v56, s3, -v143
	v_fma_f16 v183, v59, s14, v182
	v_add_f16_e32 v15, v16, v15
	v_fma_f16 v16, v57, s14, -v144
	v_add_f16_e32 v178, v183, v178
	v_mul_f16_e32 v183, 0xb5c8, v94
	v_add_f16_e32 v15, v16, v15
	v_fma_f16 v16, v58, s16, -v145
	;; [unrolled: 7-line block ×4, first 2 shown]
	v_fma_f16 v186, v63, s3, v185
	v_add_f16_e32 v15, v16, v15
	v_fma_f16 v16, v20, s30, v150
	v_add_f16_e32 v178, v186, v178
	v_mul_f16_e32 v186, 0x39e9, v68
	v_add_f16_e32 v16, v23, v16
	v_fma_f16 v18, v47, s26, v152
	v_fma_f16 v187, v20, s31, v186
	v_mul_f16_e32 v188, 0x2de8, v70
	v_add_f16_e32 v16, v18, v16
	v_fma_f16 v18, v49, s24, v153
	v_add_f16_e32 v187, v23, v187
	v_fma_f16 v189, v47, s34, v188
	;; [unrolled: 2-line block ×3, first 2 shown]
	v_add_f16_e32 v187, v189, v187
	v_mul_f16_e32 v189, 0xb8d2, v72
	v_add_f16_e32 v16, v18, v16
	v_fma_f16 v18, v51, s20, v155
	v_fma_f16 v190, v49, s29, v189
	v_add_f16_e32 v16, v18, v16
	v_fma_f16 v18, v52, s22, v156
	v_add_f16_e32 v187, v190, v187
	v_mul_f16_e32 v190, 0xbbdd, v74
	v_add_f16_e32 v16, v18, v16
	v_fma_f16 v18, v53, s29, v157
	v_fma_f16 v191, v50, s23, v190
	v_add_f16_e32 v16, v18, v16
	v_fma_f16 v18, v54, s14, v158
	v_add_f16_e32 v187, v191, v187
	v_mul_f16_e32 v191, 0xbacd, v76
	v_add_f16_e32 v16, v18, v16
	v_fma_f16 v18, v55, s19, -v159
	v_fma_f16 v192, v51, s22, v191
	v_add_f16_e32 v18, v13, v18
	v_fma_f16 v19, v56, s2, -v161
	v_add_f16_e32 v187, v192, v187
	v_mul_f16_e32 v192, 0xb461, v78
	v_add_f16_e32 v18, v19, v18
	v_fma_f16 v19, v57, s17, -v162
	v_fma_f16 v193, v52, s27, v192
	v_add_f16_e32 v18, v19, v18
	v_fma_f16 v19, v58, s4, -v163
	;; [unrolled: 7-line block ×3, first 2 shown]
	v_add_f16_e32 v187, v194, v187
	v_mul_f16_e32 v194, 0x35c8, v82
	v_add_f16_e32 v18, v19, v18
	v_fma_f16 v19, v62, s5, -v166
	v_fma_f16 v195, v54, s4, -v194
	v_add_f16_e32 v18, v19, v18
	v_fma_f16 v19, v63, s14, -v167
	v_add_f16_e32 v187, v195, v187
	v_mul_f16_e32 v195, 0xb964, v84
	v_add_f16_e32 v18, v19, v18
	v_fma_f16 v19, v20, s20, v168
	v_fma_f16 v196, v55, s14, v195
	v_mul_f16_e32 v197, 0xbbf7, v86
	v_add_f16_e32 v19, v23, v19
	v_fma_f16 v21, v47, s25, v170
	v_add_f16_e32 v196, v13, v196
	v_fma_f16 v198, v56, s19, v197
	v_add_f16_e32 v19, v21, v19
	v_fma_f16 v21, v49, s23, v171
	v_add_f16_e32 v196, v198, v196
	v_mul_f16_e32 v198, 0xba62, v88
	v_add_f16_e32 v19, v21, v19
	v_fma_f16 v21, v50, s24, v172
	v_fma_f16 v199, v57, s5, v198
	v_add_f16_e32 v19, v21, v19
	v_fma_f16 v21, v51, s31, v173
	v_add_f16_e32 v196, v199, v196
	v_mul_f16_e32 v199, 0xb1e1, v90
	v_add_f16_e32 v5, v6, v5
	v_add_f16_e32 v6, v41, v23
	;; [unrolled: 1-line block ×3, first 2 shown]
	v_fma_f16 v21, v52, s15, v174
	v_fma_f16 v200, v58, s2, v199
	v_add_f16_e32 v6, v42, v6
	v_add_f16_e32 v19, v21, v19
	v_fma_f16 v21, v53, s30, v175
	v_add_f16_e32 v196, v200, v196
	v_mul_f16_e32 v200, 0x3836, v92
	v_add_f16_e32 v6, v46, v6
	v_add_f16_e32 v19, v21, v19
	v_fma_f16 v21, v54, s3, v176
	v_fma_f16 v201, v59, s3, v200
	v_add_f16_e32 v6, v45, v6
	v_add_f16_e32 v19, v21, v19
	v_fma_f16 v21, v55, s16, -v177
	v_add_f16_e32 v196, v201, v196
	v_mul_f16_e32 v201, 0x3bb2, v94
	v_add_f16_e32 v6, v30, v6
	v_add_f16_e32 v21, v13, v21
	v_fma_f16 v30, v56, s5, -v179
	v_fma_f16 v202, v61, s17, v201
	v_add_f16_e32 v21, v30, v21
	v_fma_f16 v30, v57, s2, -v180
	v_add_f16_e32 v196, v202, v196
	v_mul_f16_e32 v202, 0x3b29, v96
	v_add_f16_e32 v21, v30, v21
	v_fma_f16 v30, v58, s17, -v181
	v_fma_f16 v203, v62, s16, v202
	v_add_f16_e32 v21, v30, v21
	v_fma_f16 v30, v59, s14, -v182
	v_add_f16_e32 v196, v203, v196
	v_mul_f16_e32 v203, 0x35c8, v98
	v_add_f16_e32 v21, v30, v21
	v_fma_f16 v30, v61, s4, -v183
	v_fma_f16 v204, v63, s4, v203
	v_mul_f16_e32 v68, 0x3b76, v68
	v_add_f16_e32 v21, v30, v21
	v_fma_f16 v30, v62, s19, -v184
	v_add_f16_e32 v196, v204, v196
	v_fma_f16 v204, v20, s33, v68
	v_mul_f16_e32 v70, 0x39e9, v70
	v_add_f16_e32 v21, v30, v21
	v_fma_f16 v30, v63, s3, -v185
	v_add_f16_e32 v204, v23, v204
	v_fma_f16 v205, v47, s31, v70
	v_mul_f16_e32 v72, 0x3722, v72
	v_add_f16_e32 v21, v30, v21
	v_fma_f16 v30, v20, s18, v186
	v_fma_f16 v20, v20, s15, v68
	v_add_f16_e32 v204, v205, v204
	v_fma_f16 v205, v49, s28, v72
	v_mul_f16_e32 v74, 0x2de8, v74
	v_add_f16_e32 v6, v31, v6
	v_add_f16_e32 v30, v23, v30
	v_fma_f16 v31, v47, s30, v188
	v_add_f16_e32 v20, v23, v20
	v_fma_f16 v23, v47, s18, v70
	v_add_f16_e32 v204, v205, v204
	v_fma_f16 v205, v50, s34, v74
	v_mul_f16_e32 v76, 0xb461, v76
	v_add_f16_e32 v30, v31, v30
	v_fma_f16 v31, v49, s25, v189
	v_add_f16_e32 v20, v23, v20
	v_fma_f16 v23, v49, s20, v72
	v_add_f16_e32 v204, v205, v204
	v_fma_f16 v205, v51, s24, v76
	v_mul_f16_e32 v78, 0xb8d2, v78
	;; [unrolled: 7-line block ×4, first 2 shown]
	v_add_f16_e32 v30, v31, v30
	v_fma_f16 v31, v52, s24, v192
	v_add_f16_e32 v20, v23, v20
	v_fma_f16 v23, v52, s25, v78
	v_add_f16_e32 v204, v205, v204
	v_fma_f16 v205, v54, s2, -v82
	v_mul_f16_e32 v84, 0xb5c8, v84
	v_add_f16_e32 v6, v32, v6
	v_add_f16_e32 v30, v31, v30
	v_fma_f16 v31, v53, s28, v193
	v_add_f16_e32 v20, v23, v20
	v_fma_f16 v23, v53, s22, v80
	;; [unrolled: 2-line block ×3, first 2 shown]
	v_mul_f16_e32 v86, 0xb964, v86
	v_add_f16_e32 v6, v43, v6
	v_add_f16_e32 v30, v31, v30
	v_fma_f16 v31, v54, s4, v194
	v_add_f16_e32 v20, v23, v20
	v_fma_f16 v23, v54, s2, v82
	;; [unrolled: 2-line block ×3, first 2 shown]
	v_mul_f16_e32 v88, 0xbb29, v88
	v_add_f16_e32 v6, v44, v6
	v_add_f16_e32 v30, v31, v30
	v_fma_f16 v31, v55, s14, -v195
	v_add_f16_e32 v20, v23, v20
	v_fma_f16 v23, v55, s4, -v84
	v_add_f16_e32 v205, v206, v205
	v_fma_f16 v206, v57, s16, v88
	v_mul_f16_e32 v90, 0xbbf7, v90
	v_add_f16_e32 v6, v37, v6
	v_add_f16_e32 v31, v13, v31
	;; [unrolled: 1-line block ×3, first 2 shown]
	v_fma_f16 v23, v56, s14, -v86
	v_add_f16_e32 v205, v206, v205
	v_fma_f16 v206, v58, s19, v90
	v_mul_f16_e32 v92, 0xbbb2, v92
	v_add_f16_e32 v6, v38, v6
	v_add_f16_e32 v13, v23, v13
	v_fma_f16 v23, v57, s16, -v88
	v_add_f16_e32 v205, v206, v205
	v_fma_f16 v206, v59, s17, v92
	v_mul_f16_e32 v94, 0xba62, v94
	v_add_f16_e32 v6, v39, v6
	v_add_f16_e32 v13, v23, v13
	;; [unrolled: 6-line block ×4, first 2 shown]
	v_fma_f16 v23, v61, s5, -v94
	v_add_f16_e32 v205, v206, v205
	v_fma_f16 v206, v63, s2, v98
	v_add_f16_e32 v6, v33, v6
	v_add_f16_e32 v13, v23, v13
	v_fma_f16 v23, v62, s3, -v96
	v_add_f16_e32 v205, v206, v205
	v_add_f16_e32 v5, v36, v5
	;; [unrolled: 1-line block ×3, first 2 shown]
	v_fma_f16 v32, v56, s19, -v197
	v_add_f16_e32 v13, v23, v13
	v_fma_f16 v23, v63, s2, -v98
	v_add_f16_e32 v31, v32, v31
	;; [unrolled: 2-line block ×3, first 2 shown]
	v_lshl_add_u32 v23, v24, 2, v29
	v_pack_b32_f16 v24, v205, v204
	v_pack_b32_f16 v5, v5, v6
	v_add_f16_e32 v31, v32, v31
	v_fma_f16 v32, v58, s2, -v199
	ds_write2_b32 v23, v5, v24 offset1:1
	v_pack_b32_f16 v5, v178, v169
	v_pack_b32_f16 v6, v196, v187
	v_add_f16_e32 v31, v32, v31
	v_fma_f16 v32, v59, s3, -v200
	ds_write2_b32 v23, v6, v5 offset0:2 offset1:3
	v_pack_b32_f16 v5, v142, v133
	v_pack_b32_f16 v6, v160, v151
	v_add_f16_e32 v31, v32, v31
	v_fma_f16 v32, v61, s17, -v201
	ds_write2_b32 v23, v6, v5 offset0:4 offset1:5
	;; [unrolled: 5-line block ×4, first 2 shown]
	v_pack_b32_f16 v5, v12, v11
	v_pack_b32_f16 v6, v10, v9
	v_add_f16_e32 v31, v32, v31
	ds_write2_b32 v23, v6, v5 offset0:10 offset1:11
	v_pack_b32_f16 v5, v18, v16
	v_pack_b32_f16 v6, v15, v14
	ds_write2_b32 v23, v6, v5 offset0:12 offset1:13
	v_pack_b32_f16 v5, v31, v30
	v_pack_b32_f16 v6, v21, v19
	ds_write2_b32 v23, v6, v5 offset0:14 offset1:15
	v_pack_b32_f16 v5, v13, v20
	ds_write_b32 v23, v5 offset:64
.LBB0_13:
	s_or_b64 exec, exec, s[0:1]
	s_waitcnt lgkmcnt(0)
	s_barrier
	ds_read2_b32 v[5:6], v17 offset1:17
	ds_read2_b32 v[7:8], v17 offset0:34 offset1:51
	ds_read_b32 v9, v17 offset:272
	s_mov_b32 s0, 0xbb9c
	s_movk_i32 s3, 0x3b9c
	s_waitcnt lgkmcnt(2)
	v_lshrrev_b32_e32 v11, 16, v6
	v_mul_f16_sdwa v15, v0, v11 dst_sel:DWORD dst_unused:UNUSED_PAD src0_sel:WORD_1 src1_sel:DWORD
	s_waitcnt lgkmcnt(1)
	v_lshrrev_b32_e32 v12, 16, v7
	v_fma_f16 v15, v0, v6, v15
	v_mul_f16_sdwa v6, v0, v6 dst_sel:DWORD dst_unused:UNUSED_PAD src0_sel:WORD_1 src1_sel:DWORD
	v_fma_f16 v0, v0, v11, -v6
	v_mul_f16_sdwa v6, v1, v12 dst_sel:DWORD dst_unused:UNUSED_PAD src0_sel:WORD_1 src1_sel:DWORD
	v_lshrrev_b32_e32 v13, 16, v8
	v_fma_f16 v6, v1, v7, v6
	v_mul_f16_sdwa v7, v1, v7 dst_sel:DWORD dst_unused:UNUSED_PAD src0_sel:WORD_1 src1_sel:DWORD
	v_fma_f16 v1, v1, v12, -v7
	v_mul_f16_sdwa v7, v2, v13 dst_sel:DWORD dst_unused:UNUSED_PAD src0_sel:WORD_1 src1_sel:DWORD
	s_waitcnt lgkmcnt(0)
	v_lshrrev_b32_e32 v14, 16, v9
	v_fma_f16 v7, v2, v8, v7
	v_mul_f16_sdwa v8, v2, v8 dst_sel:DWORD dst_unused:UNUSED_PAD src0_sel:WORD_1 src1_sel:DWORD
	v_fma_f16 v2, v2, v13, -v8
	v_mul_f16_sdwa v8, v3, v14 dst_sel:DWORD dst_unused:UNUSED_PAD src0_sel:WORD_1 src1_sel:DWORD
	v_fma_f16 v8, v3, v9, v8
	v_mul_f16_sdwa v9, v3, v9 dst_sel:DWORD dst_unused:UNUSED_PAD src0_sel:WORD_1 src1_sel:DWORD
	v_fma_f16 v3, v3, v14, -v9
	v_add_f16_e32 v11, v6, v7
	v_fma_f16 v11, v11, -0.5, v5
	v_sub_f16_e32 v12, v0, v3
	v_fma_f16 v13, v12, s0, v11
	v_sub_f16_e32 v14, v1, v2
	s_mov_b32 s1, 0xb8b4
	v_sub_f16_e32 v16, v15, v6
	v_sub_f16_e32 v17, v8, v7
	v_fma_f16 v11, v12, s3, v11
	s_movk_i32 s4, 0x38b4
	v_fma_f16 v13, v14, s1, v13
	v_add_f16_e32 v16, v16, v17
	s_movk_i32 s2, 0x34f2
	v_fma_f16 v11, v14, s4, v11
	v_add_f16_e32 v9, v5, v15
	v_fma_f16 v13, v16, s2, v13
	v_fma_f16 v11, v16, s2, v11
	v_add_f16_e32 v16, v15, v8
	v_lshrrev_b32_e32 v10, 16, v5
	v_add_f16_e32 v9, v9, v6
	v_fma_f16 v5, v16, -0.5, v5
	v_add_f16_e32 v9, v9, v7
	v_fma_f16 v16, v14, s3, v5
	v_fma_f16 v5, v14, s0, v5
	v_add_f16_e32 v14, v1, v2
	v_add_f16_e32 v9, v9, v8
	v_sub_f16_e32 v17, v6, v15
	v_sub_f16_e32 v18, v7, v8
	v_fma_f16 v14, v14, -0.5, v10
	v_sub_f16_e32 v8, v15, v8
	v_fma_f16 v16, v12, s1, v16
	v_add_f16_e32 v17, v17, v18
	v_fma_f16 v5, v12, s4, v5
	v_fma_f16 v15, v8, s3, v14
	v_sub_f16_e32 v6, v6, v7
	v_fma_f16 v16, v17, s2, v16
	v_fma_f16 v5, v17, s2, v5
	;; [unrolled: 1-line block ×3, first 2 shown]
	v_sub_f16_e32 v15, v0, v1
	v_sub_f16_e32 v17, v3, v2
	v_fma_f16 v14, v8, s0, v14
	v_add_f16_e32 v15, v15, v17
	v_fma_f16 v14, v6, s1, v14
	v_add_f16_e32 v12, v10, v0
	v_fma_f16 v7, v15, s2, v7
	v_fma_f16 v14, v15, s2, v14
	v_add_f16_e32 v15, v0, v3
	v_add_f16_e32 v12, v12, v1
	v_fma_f16 v10, v15, -0.5, v10
	v_add_f16_e32 v12, v12, v2
	v_fma_f16 v15, v6, s0, v10
	v_sub_f16_e32 v0, v1, v0
	v_sub_f16_e32 v1, v2, v3
	v_fma_f16 v2, v6, s3, v10
	v_fma_f16 v15, v8, s4, v15
	v_add_f16_e32 v0, v0, v1
	v_fma_f16 v2, v8, s1, v2
	v_fma_f16 v1, v0, s2, v15
	;; [unrolled: 1-line block ×3, first 2 shown]
	v_add_f16_e32 v12, v12, v3
	v_pack_b32_f16 v1, v16, v1
	v_pack_b32_f16 v0, v5, v0
	;; [unrolled: 1-line block ×4, first 2 shown]
	ds_write2_b32 v22, v1, v0 offset0:34 offset1:51
	v_pack_b32_f16 v0, v11, v14
	ds_write2_b32 v22, v2, v3 offset1:17
	ds_write_b32 v22, v0 offset:272
	s_waitcnt lgkmcnt(0)
	s_barrier
	s_and_b64 exec, exec, vcc
	s_cbranch_execz .LBB0_15
; %bb.14:
	global_load_dword v8, v26, s[6:7]
	v_mad_u64_u32 v[5:6], s[0:1], s8, v25, 0
	v_mad_u64_u32 v[1:2], s[0:1], s10, v4, 0
	ds_read_b32 v9, v22
	v_mov_b32_e32 v3, v6
	v_mad_u64_u32 v[6:7], s[0:1], s11, v4, v[2:3]
	v_mad_u64_u32 v[3:4], s[0:1], s9, v25, v[3:4]
	s_waitcnt lgkmcnt(0)
	v_lshrrev_b32_e32 v4, 16, v9
	v_mov_b32_e32 v2, v6
	v_mov_b32_e32 v6, v3
	s_mov_b32 s14, 0x18181818
	s_mov_b32 s15, 0x3f881818
	v_lshlrev_b64 v[1:2], 2, v[1:2]
	v_mov_b32_e32 v10, s13
	v_lshlrev_b64 v[5:6], 2, v[5:6]
	v_add_co_u32_e32 v1, vcc, s12, v1
	v_addc_co_u32_e32 v2, vcc, v10, v2, vcc
	s_movk_i32 s16, 0x1ff
	v_add_co_u32_e32 v5, vcc, v1, v5
	v_addc_co_u32_e32 v6, vcc, v2, v6, vcc
	s_movk_i32 s10, 0xffe
	v_mov_b32_e32 v0, 0x7c00
	s_movk_i32 s18, 0x40f
	s_mov_b32 s17, 0x8000
	s_mul_hi_u32 s12, s8, 20
	s_mul_i32 s11, s8, 20
	s_waitcnt vmcnt(0)
	v_mul_f16_sdwa v3, v4, v8 dst_sel:DWORD dst_unused:UNUSED_PAD src0_sel:DWORD src1_sel:WORD_1
	v_fma_f16 v3, v9, v8, v3
	v_mul_f16_sdwa v7, v9, v8 dst_sel:DWORD dst_unused:UNUSED_PAD src0_sel:DWORD src1_sel:WORD_1
	v_cvt_f32_f16_e32 v3, v3
	v_fma_f16 v4, v8, v4, -v7
	v_cvt_f32_f16_e32 v7, v4
	v_cvt_f64_f32_e32 v[3:4], v3
	v_cvt_f64_f32_e32 v[7:8], v7
	v_mul_f64 v[3:4], v[3:4], s[14:15]
	v_mul_f64 v[7:8], v[7:8], s[14:15]
	v_and_or_b32 v3, v4, s16, v3
	v_cmp_ne_u32_e32 vcc, 0, v3
	v_and_or_b32 v7, v8, s16, v7
	v_lshrrev_b32_e32 v9, 8, v4
	v_bfe_u32 v10, v4, 20, 11
	v_cndmask_b32_e64 v3, 0, 1, vcc
	v_cmp_ne_u32_e32 vcc, 0, v7
	v_lshrrev_b32_e32 v11, 8, v8
	v_bfe_u32 v12, v8, 20, 11
	v_sub_u32_e32 v13, 0x3f1, v10
	v_cndmask_b32_e64 v7, 0, 1, vcc
	v_and_or_b32 v3, v9, s10, v3
	v_sub_u32_e32 v14, 0x3f1, v12
	v_med3_i32 v9, v13, 0, 13
	v_and_or_b32 v7, v11, s10, v7
	v_or_b32_e32 v13, 0x1000, v3
	v_add_u32_e32 v10, 0xfffffc10, v10
	v_med3_i32 v11, v14, 0, 13
	v_cmp_ne_u32_e32 vcc, 0, v3
	v_or_b32_e32 v15, 0x1000, v7
	v_lshrrev_b32_e32 v17, v9, v13
	v_add_u32_e32 v12, 0xfffffc10, v12
	v_lshl_or_b32 v14, v10, 12, v3
	v_cndmask_b32_e64 v3, 0, 1, vcc
	v_cmp_ne_u32_e32 vcc, 0, v7
	v_lshrrev_b32_e32 v18, v11, v15
	v_lshlrev_b32_e32 v9, v9, v17
	v_lshl_or_b32 v16, v12, 12, v7
	v_cndmask_b32_e64 v7, 0, 1, vcc
	v_lshlrev_b32_e32 v11, v11, v18
	v_cmp_ne_u32_e32 vcc, v9, v13
	v_cndmask_b32_e64 v9, 0, 1, vcc
	v_cmp_ne_u32_e32 vcc, v11, v15
	v_cndmask_b32_e64 v11, 0, 1, vcc
	v_or_b32_e32 v9, v17, v9
	v_cmp_gt_i32_e32 vcc, 1, v10
	v_cndmask_b32_e32 v9, v14, v9, vcc
	v_or_b32_e32 v11, v18, v11
	v_cmp_gt_i32_e32 vcc, 1, v12
	v_and_b32_e32 v13, 7, v9
	v_cndmask_b32_e32 v11, v16, v11, vcc
	v_cmp_lt_i32_e32 vcc, 5, v13
	v_cmp_eq_u32_e64 s[0:1], 3, v13
	v_lshrrev_b32_e32 v9, 2, v9
	v_and_b32_e32 v14, 7, v11
	s_or_b64 vcc, s[0:1], vcc
	v_cmp_lt_i32_e64 s[2:3], 5, v14
	v_cmp_eq_u32_e64 s[4:5], 3, v14
	v_addc_co_u32_e32 v9, vcc, 0, v9, vcc
	v_lshrrev_b32_e32 v11, 2, v11
	s_or_b64 vcc, s[4:5], s[2:3]
	v_addc_co_u32_e32 v11, vcc, 0, v11, vcc
	v_cmp_gt_i32_e32 vcc, 31, v10
	v_cndmask_b32_e32 v9, v0, v9, vcc
	v_cmp_gt_i32_e32 vcc, 31, v12
	v_lshl_or_b32 v3, v3, 9, v0
	v_cndmask_b32_e32 v11, v0, v11, vcc
	v_cmp_eq_u32_e32 vcc, s18, v10
	v_lshrrev_b32_e32 v4, 16, v4
	v_lshl_or_b32 v7, v7, 9, v0
	v_cndmask_b32_e32 v3, v9, v3, vcc
	v_cmp_eq_u32_e32 vcc, s18, v12
	v_lshrrev_b32_e32 v8, 16, v8
	v_cndmask_b32_e32 v7, v11, v7, vcc
	v_and_or_b32 v3, v4, s17, v3
	v_and_or_b32 v4, v8, s17, v7
	v_and_b32_e32 v3, 0xffff, v3
	v_lshl_or_b32 v3, v4, 16, v3
	global_store_dword v[5:6], v3, off
	global_load_dword v4, v26, s[6:7] offset:20
	v_lshl_add_u32 v3, v28, 2, v26
	ds_read2_b32 v[7:8], v3 offset0:5 offset1:10
	s_mul_i32 s0, s9, 20
	s_add_i32 s12, s12, s0
	s_waitcnt lgkmcnt(0)
	v_lshrrev_b32_e32 v9, 16, v7
	s_waitcnt vmcnt(0)
	v_mul_f16_sdwa v10, v9, v4 dst_sel:DWORD dst_unused:UNUSED_PAD src0_sel:DWORD src1_sel:WORD_1
	v_fma_f16 v10, v7, v4, v10
	v_mul_f16_sdwa v7, v7, v4 dst_sel:DWORD dst_unused:UNUSED_PAD src0_sel:DWORD src1_sel:WORD_1
	v_cvt_f32_f16_e32 v10, v10
	v_fma_f16 v4, v4, v9, -v7
	v_cvt_f32_f16_e32 v4, v4
	v_mov_b32_e32 v7, s12
	v_cvt_f64_f32_e32 v[9:10], v10
	v_cvt_f64_f32_e32 v[11:12], v4
	v_add_co_u32_e32 v4, vcc, s11, v5
	v_mul_f64 v[9:10], v[9:10], s[14:15]
	v_mul_f64 v[11:12], v[11:12], s[14:15]
	v_addc_co_u32_e32 v5, vcc, v6, v7, vcc
	v_and_or_b32 v6, v10, s16, v9
	v_and_or_b32 v11, v12, s16, v11
	v_cmp_ne_u32_e32 vcc, 0, v6
	v_lshrrev_b32_e32 v7, 8, v10
	v_bfe_u32 v9, v10, 20, 11
	v_cndmask_b32_e64 v6, 0, 1, vcc
	v_cmp_ne_u32_e32 vcc, 0, v11
	v_lshrrev_b32_e32 v13, 8, v12
	v_bfe_u32 v14, v12, 20, 11
	v_sub_u32_e32 v15, 0x3f1, v9
	v_cndmask_b32_e64 v11, 0, 1, vcc
	v_and_or_b32 v6, v7, s10, v6
	v_sub_u32_e32 v16, 0x3f1, v14
	v_med3_i32 v7, v15, 0, 13
	v_and_or_b32 v11, v13, s10, v11
	v_or_b32_e32 v15, 0x1000, v6
	v_add_u32_e32 v9, 0xfffffc10, v9
	v_med3_i32 v13, v16, 0, 13
	v_cmp_ne_u32_e32 vcc, 0, v6
	v_or_b32_e32 v17, 0x1000, v11
	v_lshrrev_b32_e32 v19, v7, v15
	v_add_u32_e32 v14, 0xfffffc10, v14
	v_lshl_or_b32 v16, v9, 12, v6
	v_cndmask_b32_e64 v6, 0, 1, vcc
	v_cmp_ne_u32_e32 vcc, 0, v11
	v_lshrrev_b32_e32 v20, v13, v17
	v_lshlrev_b32_e32 v7, v7, v19
	v_lshl_or_b32 v18, v14, 12, v11
	v_cndmask_b32_e64 v11, 0, 1, vcc
	v_lshlrev_b32_e32 v13, v13, v20
	v_cmp_ne_u32_e32 vcc, v7, v15
	v_cndmask_b32_e64 v7, 0, 1, vcc
	v_cmp_ne_u32_e32 vcc, v13, v17
	v_cndmask_b32_e64 v13, 0, 1, vcc
	v_or_b32_e32 v7, v19, v7
	v_cmp_gt_i32_e32 vcc, 1, v9
	v_cndmask_b32_e32 v7, v16, v7, vcc
	v_or_b32_e32 v13, v20, v13
	v_cmp_gt_i32_e32 vcc, 1, v14
	v_and_b32_e32 v15, 7, v7
	v_cndmask_b32_e32 v13, v18, v13, vcc
	v_cmp_lt_i32_e32 vcc, 5, v15
	v_cmp_eq_u32_e64 s[0:1], 3, v15
	v_lshrrev_b32_e32 v7, 2, v7
	v_and_b32_e32 v16, 7, v13
	s_or_b64 vcc, s[0:1], vcc
	v_cmp_lt_i32_e64 s[2:3], 5, v16
	v_cmp_eq_u32_e64 s[4:5], 3, v16
	v_addc_co_u32_e32 v7, vcc, 0, v7, vcc
	v_lshrrev_b32_e32 v13, 2, v13
	s_or_b64 vcc, s[4:5], s[2:3]
	v_addc_co_u32_e32 v13, vcc, 0, v13, vcc
	v_cmp_gt_i32_e32 vcc, 31, v9
	v_cndmask_b32_e32 v7, v0, v7, vcc
	v_cmp_gt_i32_e32 vcc, 31, v14
	v_lshl_or_b32 v6, v6, 9, v0
	v_cndmask_b32_e32 v13, v0, v13, vcc
	v_cmp_eq_u32_e32 vcc, s18, v9
	v_lshrrev_b32_e32 v10, 16, v10
	v_lshl_or_b32 v11, v11, 9, v0
	v_cndmask_b32_e32 v6, v7, v6, vcc
	v_cmp_eq_u32_e32 vcc, s18, v14
	v_lshrrev_b32_e32 v12, 16, v12
	v_cndmask_b32_e32 v7, v13, v11, vcc
	v_and_or_b32 v6, v10, s17, v6
	v_and_or_b32 v7, v12, s17, v7
	v_and_b32_e32 v6, 0xffff, v6
	v_lshl_or_b32 v6, v7, 16, v6
	global_store_dword v[4:5], v6, off
	global_load_dword v6, v26, s[6:7] offset:40
	v_lshrrev_b32_e32 v7, 16, v8
	v_mov_b32_e32 v10, s12
	v_add_co_u32_e32 v4, vcc, s11, v4
	v_addc_co_u32_e32 v5, vcc, v5, v10, vcc
	s_waitcnt vmcnt(0)
	v_mul_f16_sdwa v9, v7, v6 dst_sel:DWORD dst_unused:UNUSED_PAD src0_sel:DWORD src1_sel:WORD_1
	v_fma_f16 v9, v8, v6, v9
	v_mul_f16_sdwa v8, v8, v6 dst_sel:DWORD dst_unused:UNUSED_PAD src0_sel:DWORD src1_sel:WORD_1
	v_cvt_f32_f16_e32 v9, v9
	v_fma_f16 v6, v6, v7, -v8
	v_cvt_f32_f16_e32 v8, v6
	v_cvt_f64_f32_e32 v[6:7], v9
	v_cvt_f64_f32_e32 v[8:9], v8
	v_mul_f64 v[6:7], v[6:7], s[14:15]
	v_mul_f64 v[8:9], v[8:9], s[14:15]
	v_and_or_b32 v6, v7, s16, v6
	v_cmp_ne_u32_e32 vcc, 0, v6
	v_and_or_b32 v8, v9, s16, v8
	v_lshrrev_b32_e32 v10, 8, v7
	v_bfe_u32 v11, v7, 20, 11
	v_cndmask_b32_e64 v6, 0, 1, vcc
	v_cmp_ne_u32_e32 vcc, 0, v8
	v_lshrrev_b32_e32 v12, 8, v9
	v_bfe_u32 v13, v9, 20, 11
	v_sub_u32_e32 v14, 0x3f1, v11
	v_cndmask_b32_e64 v8, 0, 1, vcc
	v_and_or_b32 v6, v10, s10, v6
	v_sub_u32_e32 v15, 0x3f1, v13
	v_med3_i32 v10, v14, 0, 13
	v_and_or_b32 v8, v12, s10, v8
	v_or_b32_e32 v14, 0x1000, v6
	v_add_u32_e32 v11, 0xfffffc10, v11
	v_med3_i32 v12, v15, 0, 13
	v_cmp_ne_u32_e32 vcc, 0, v6
	v_or_b32_e32 v16, 0x1000, v8
	v_lshrrev_b32_e32 v18, v10, v14
	v_add_u32_e32 v13, 0xfffffc10, v13
	v_lshl_or_b32 v15, v11, 12, v6
	v_cndmask_b32_e64 v6, 0, 1, vcc
	v_cmp_ne_u32_e32 vcc, 0, v8
	v_lshrrev_b32_e32 v19, v12, v16
	v_lshlrev_b32_e32 v10, v10, v18
	v_lshl_or_b32 v17, v13, 12, v8
	v_cndmask_b32_e64 v8, 0, 1, vcc
	v_lshlrev_b32_e32 v12, v12, v19
	v_cmp_ne_u32_e32 vcc, v10, v14
	v_cndmask_b32_e64 v10, 0, 1, vcc
	v_cmp_ne_u32_e32 vcc, v12, v16
	v_cndmask_b32_e64 v12, 0, 1, vcc
	v_or_b32_e32 v10, v18, v10
	v_cmp_gt_i32_e32 vcc, 1, v11
	v_cndmask_b32_e32 v10, v15, v10, vcc
	v_or_b32_e32 v12, v19, v12
	v_cmp_gt_i32_e32 vcc, 1, v13
	v_and_b32_e32 v14, 7, v10
	v_cndmask_b32_e32 v12, v17, v12, vcc
	v_cmp_lt_i32_e32 vcc, 5, v14
	v_cmp_eq_u32_e64 s[0:1], 3, v14
	v_lshrrev_b32_e32 v10, 2, v10
	v_and_b32_e32 v15, 7, v12
	s_or_b64 vcc, s[0:1], vcc
	v_cmp_lt_i32_e64 s[2:3], 5, v15
	v_cmp_eq_u32_e64 s[4:5], 3, v15
	v_addc_co_u32_e32 v10, vcc, 0, v10, vcc
	v_lshrrev_b32_e32 v12, 2, v12
	s_or_b64 vcc, s[4:5], s[2:3]
	v_addc_co_u32_e32 v12, vcc, 0, v12, vcc
	v_cmp_gt_i32_e32 vcc, 31, v11
	v_cndmask_b32_e32 v10, v0, v10, vcc
	v_cmp_gt_i32_e32 vcc, 31, v13
	v_lshl_or_b32 v6, v6, 9, v0
	v_cndmask_b32_e32 v12, v0, v12, vcc
	v_cmp_eq_u32_e32 vcc, s18, v11
	v_lshrrev_b32_e32 v7, 16, v7
	v_lshl_or_b32 v8, v8, 9, v0
	v_cndmask_b32_e32 v6, v10, v6, vcc
	v_cmp_eq_u32_e32 vcc, s18, v13
	v_lshrrev_b32_e32 v9, 16, v9
	v_cndmask_b32_e32 v8, v12, v8, vcc
	v_and_or_b32 v6, v7, s17, v6
	v_and_or_b32 v7, v9, s17, v8
	v_and_b32_e32 v6, 0xffff, v6
	v_lshl_or_b32 v6, v7, 16, v6
	global_store_dword v[4:5], v6, off
	global_load_dword v8, v26, s[6:7] offset:60
	ds_read2_b32 v[6:7], v3 offset0:15 offset1:20
	v_add_co_u32_e32 v4, vcc, s11, v4
	s_waitcnt lgkmcnt(0)
	v_lshrrev_b32_e32 v9, 16, v6
	s_waitcnt vmcnt(0)
	v_mul_f16_sdwa v10, v9, v8 dst_sel:DWORD dst_unused:UNUSED_PAD src0_sel:DWORD src1_sel:WORD_1
	v_fma_f16 v10, v6, v8, v10
	v_mul_f16_sdwa v6, v6, v8 dst_sel:DWORD dst_unused:UNUSED_PAD src0_sel:DWORD src1_sel:WORD_1
	v_cvt_f32_f16_e32 v10, v10
	v_fma_f16 v6, v8, v9, -v6
	v_cvt_f32_f16_e32 v6, v6
	v_cvt_f64_f32_e32 v[8:9], v10
	v_cvt_f64_f32_e32 v[10:11], v6
	v_mov_b32_e32 v6, s12
	v_mul_f64 v[8:9], v[8:9], s[14:15]
	v_addc_co_u32_e32 v5, vcc, v5, v6, vcc
	v_mul_f64 v[10:11], v[10:11], s[14:15]
	v_and_or_b32 v6, v9, s16, v8
	v_cmp_ne_u32_e32 vcc, 0, v6
	v_lshrrev_b32_e32 v8, 8, v9
	v_and_or_b32 v10, v11, s16, v10
	v_bfe_u32 v12, v9, 20, 11
	v_cndmask_b32_e64 v6, 0, 1, vcc
	v_cmp_ne_u32_e32 vcc, 0, v10
	v_lshrrev_b32_e32 v13, 8, v11
	v_bfe_u32 v14, v11, 20, 11
	v_sub_u32_e32 v15, 0x3f1, v12
	v_cndmask_b32_e64 v10, 0, 1, vcc
	v_and_or_b32 v6, v8, s10, v6
	v_sub_u32_e32 v16, 0x3f1, v14
	v_med3_i32 v8, v15, 0, 13
	v_and_or_b32 v10, v13, s10, v10
	v_or_b32_e32 v15, 0x1000, v6
	v_add_u32_e32 v12, 0xfffffc10, v12
	v_med3_i32 v13, v16, 0, 13
	v_cmp_ne_u32_e32 vcc, 0, v6
	v_or_b32_e32 v17, 0x1000, v10
	v_lshrrev_b32_e32 v19, v8, v15
	v_add_u32_e32 v14, 0xfffffc10, v14
	v_lshl_or_b32 v16, v12, 12, v6
	v_cndmask_b32_e64 v6, 0, 1, vcc
	v_cmp_ne_u32_e32 vcc, 0, v10
	v_lshrrev_b32_e32 v20, v13, v17
	v_lshlrev_b32_e32 v8, v8, v19
	v_lshl_or_b32 v18, v14, 12, v10
	v_cndmask_b32_e64 v10, 0, 1, vcc
	v_lshlrev_b32_e32 v13, v13, v20
	v_cmp_ne_u32_e32 vcc, v8, v15
	v_cndmask_b32_e64 v8, 0, 1, vcc
	v_cmp_ne_u32_e32 vcc, v13, v17
	v_cndmask_b32_e64 v13, 0, 1, vcc
	v_or_b32_e32 v8, v19, v8
	v_cmp_gt_i32_e32 vcc, 1, v12
	v_cndmask_b32_e32 v8, v16, v8, vcc
	v_or_b32_e32 v13, v20, v13
	v_cmp_gt_i32_e32 vcc, 1, v14
	v_and_b32_e32 v15, 7, v8
	v_cndmask_b32_e32 v13, v18, v13, vcc
	v_cmp_lt_i32_e32 vcc, 5, v15
	v_cmp_eq_u32_e64 s[0:1], 3, v15
	v_lshrrev_b32_e32 v8, 2, v8
	v_and_b32_e32 v16, 7, v13
	s_or_b64 vcc, s[0:1], vcc
	v_cmp_lt_i32_e64 s[2:3], 5, v16
	v_cmp_eq_u32_e64 s[4:5], 3, v16
	v_addc_co_u32_e32 v8, vcc, 0, v8, vcc
	v_lshrrev_b32_e32 v13, 2, v13
	s_or_b64 vcc, s[4:5], s[2:3]
	v_addc_co_u32_e32 v13, vcc, 0, v13, vcc
	v_cmp_gt_i32_e32 vcc, 31, v12
	v_cndmask_b32_e32 v8, v0, v8, vcc
	v_cmp_gt_i32_e32 vcc, 31, v14
	v_lshl_or_b32 v6, v6, 9, v0
	v_cndmask_b32_e32 v13, v0, v13, vcc
	v_cmp_eq_u32_e32 vcc, s18, v12
	v_lshrrev_b32_e32 v9, 16, v9
	v_lshl_or_b32 v10, v10, 9, v0
	v_cndmask_b32_e32 v6, v8, v6, vcc
	v_cmp_eq_u32_e32 vcc, s18, v14
	v_lshrrev_b32_e32 v11, 16, v11
	v_cndmask_b32_e32 v8, v13, v10, vcc
	v_and_or_b32 v6, v9, s17, v6
	v_and_or_b32 v8, v11, s17, v8
	v_and_b32_e32 v6, 0xffff, v6
	v_lshl_or_b32 v6, v8, 16, v6
	global_store_dword v[4:5], v6, off
	global_load_dword v6, v26, s[6:7] offset:80
	v_lshrrev_b32_e32 v8, 16, v7
	v_mov_b32_e32 v10, s12
	v_add_co_u32_e32 v4, vcc, s11, v4
	v_addc_co_u32_e32 v5, vcc, v5, v10, vcc
	s_waitcnt vmcnt(0)
	v_mul_f16_sdwa v9, v8, v6 dst_sel:DWORD dst_unused:UNUSED_PAD src0_sel:DWORD src1_sel:WORD_1
	v_fma_f16 v9, v7, v6, v9
	v_mul_f16_sdwa v7, v7, v6 dst_sel:DWORD dst_unused:UNUSED_PAD src0_sel:DWORD src1_sel:WORD_1
	v_cvt_f32_f16_e32 v9, v9
	v_fma_f16 v6, v6, v8, -v7
	v_cvt_f32_f16_e32 v8, v6
	v_cvt_f64_f32_e32 v[6:7], v9
	v_cvt_f64_f32_e32 v[8:9], v8
	v_mul_f64 v[6:7], v[6:7], s[14:15]
	v_mul_f64 v[8:9], v[8:9], s[14:15]
	v_and_or_b32 v6, v7, s16, v6
	v_cmp_ne_u32_e32 vcc, 0, v6
	v_and_or_b32 v8, v9, s16, v8
	v_lshrrev_b32_e32 v10, 8, v7
	v_bfe_u32 v11, v7, 20, 11
	v_cndmask_b32_e64 v6, 0, 1, vcc
	v_cmp_ne_u32_e32 vcc, 0, v8
	v_lshrrev_b32_e32 v12, 8, v9
	v_bfe_u32 v13, v9, 20, 11
	v_sub_u32_e32 v14, 0x3f1, v11
	v_cndmask_b32_e64 v8, 0, 1, vcc
	v_and_or_b32 v6, v10, s10, v6
	v_sub_u32_e32 v15, 0x3f1, v13
	v_med3_i32 v10, v14, 0, 13
	v_and_or_b32 v8, v12, s10, v8
	v_or_b32_e32 v14, 0x1000, v6
	v_add_u32_e32 v11, 0xfffffc10, v11
	v_med3_i32 v12, v15, 0, 13
	v_cmp_ne_u32_e32 vcc, 0, v6
	v_or_b32_e32 v16, 0x1000, v8
	v_lshrrev_b32_e32 v18, v10, v14
	v_add_u32_e32 v13, 0xfffffc10, v13
	v_lshl_or_b32 v15, v11, 12, v6
	v_cndmask_b32_e64 v6, 0, 1, vcc
	v_cmp_ne_u32_e32 vcc, 0, v8
	v_lshrrev_b32_e32 v19, v12, v16
	v_lshlrev_b32_e32 v10, v10, v18
	v_lshl_or_b32 v17, v13, 12, v8
	v_cndmask_b32_e64 v8, 0, 1, vcc
	v_lshlrev_b32_e32 v12, v12, v19
	v_cmp_ne_u32_e32 vcc, v10, v14
	v_cndmask_b32_e64 v10, 0, 1, vcc
	v_cmp_ne_u32_e32 vcc, v12, v16
	v_cndmask_b32_e64 v12, 0, 1, vcc
	v_or_b32_e32 v10, v18, v10
	v_cmp_gt_i32_e32 vcc, 1, v11
	v_cndmask_b32_e32 v10, v15, v10, vcc
	v_or_b32_e32 v12, v19, v12
	v_cmp_gt_i32_e32 vcc, 1, v13
	v_and_b32_e32 v14, 7, v10
	v_cndmask_b32_e32 v12, v17, v12, vcc
	v_cmp_lt_i32_e32 vcc, 5, v14
	v_cmp_eq_u32_e64 s[0:1], 3, v14
	v_lshrrev_b32_e32 v10, 2, v10
	v_and_b32_e32 v15, 7, v12
	s_or_b64 vcc, s[0:1], vcc
	v_cmp_lt_i32_e64 s[2:3], 5, v15
	v_cmp_eq_u32_e64 s[4:5], 3, v15
	v_addc_co_u32_e32 v10, vcc, 0, v10, vcc
	v_lshrrev_b32_e32 v12, 2, v12
	s_or_b64 vcc, s[4:5], s[2:3]
	v_addc_co_u32_e32 v12, vcc, 0, v12, vcc
	v_cmp_gt_i32_e32 vcc, 31, v11
	v_cndmask_b32_e32 v10, v0, v10, vcc
	v_cmp_gt_i32_e32 vcc, 31, v13
	v_lshl_or_b32 v6, v6, 9, v0
	v_cndmask_b32_e32 v12, v0, v12, vcc
	v_cmp_eq_u32_e32 vcc, s18, v11
	v_lshrrev_b32_e32 v7, 16, v7
	v_lshl_or_b32 v8, v8, 9, v0
	v_cndmask_b32_e32 v6, v10, v6, vcc
	v_cmp_eq_u32_e32 vcc, s18, v13
	v_lshrrev_b32_e32 v9, 16, v9
	v_cndmask_b32_e32 v8, v12, v8, vcc
	v_and_or_b32 v6, v7, s17, v6
	v_and_or_b32 v7, v9, s17, v8
	v_and_b32_e32 v6, 0xffff, v6
	v_lshl_or_b32 v6, v7, 16, v6
	global_store_dword v[4:5], v6, off
	global_load_dword v8, v26, s[6:7] offset:100
	ds_read2_b32 v[6:7], v3 offset0:25 offset1:30
	v_add_co_u32_e32 v4, vcc, s11, v4
	s_waitcnt lgkmcnt(0)
	v_lshrrev_b32_e32 v9, 16, v6
	s_waitcnt vmcnt(0)
	v_mul_f16_sdwa v10, v9, v8 dst_sel:DWORD dst_unused:UNUSED_PAD src0_sel:DWORD src1_sel:WORD_1
	v_fma_f16 v10, v6, v8, v10
	v_mul_f16_sdwa v6, v6, v8 dst_sel:DWORD dst_unused:UNUSED_PAD src0_sel:DWORD src1_sel:WORD_1
	v_cvt_f32_f16_e32 v10, v10
	v_fma_f16 v6, v8, v9, -v6
	v_cvt_f32_f16_e32 v6, v6
	v_cvt_f64_f32_e32 v[8:9], v10
	v_cvt_f64_f32_e32 v[10:11], v6
	v_mov_b32_e32 v6, s12
	v_mul_f64 v[8:9], v[8:9], s[14:15]
	v_addc_co_u32_e32 v5, vcc, v5, v6, vcc
	v_mul_f64 v[10:11], v[10:11], s[14:15]
	v_and_or_b32 v6, v9, s16, v8
	v_cmp_ne_u32_e32 vcc, 0, v6
	v_lshrrev_b32_e32 v8, 8, v9
	v_and_or_b32 v10, v11, s16, v10
	v_bfe_u32 v12, v9, 20, 11
	v_cndmask_b32_e64 v6, 0, 1, vcc
	v_cmp_ne_u32_e32 vcc, 0, v10
	v_lshrrev_b32_e32 v13, 8, v11
	v_bfe_u32 v14, v11, 20, 11
	v_sub_u32_e32 v15, 0x3f1, v12
	v_cndmask_b32_e64 v10, 0, 1, vcc
	v_and_or_b32 v6, v8, s10, v6
	v_sub_u32_e32 v16, 0x3f1, v14
	v_med3_i32 v8, v15, 0, 13
	v_and_or_b32 v10, v13, s10, v10
	v_or_b32_e32 v15, 0x1000, v6
	v_add_u32_e32 v12, 0xfffffc10, v12
	v_med3_i32 v13, v16, 0, 13
	v_cmp_ne_u32_e32 vcc, 0, v6
	v_or_b32_e32 v17, 0x1000, v10
	v_lshrrev_b32_e32 v19, v8, v15
	v_add_u32_e32 v14, 0xfffffc10, v14
	v_lshl_or_b32 v16, v12, 12, v6
	v_cndmask_b32_e64 v6, 0, 1, vcc
	v_cmp_ne_u32_e32 vcc, 0, v10
	v_lshrrev_b32_e32 v20, v13, v17
	v_lshlrev_b32_e32 v8, v8, v19
	v_lshl_or_b32 v18, v14, 12, v10
	v_cndmask_b32_e64 v10, 0, 1, vcc
	v_lshlrev_b32_e32 v13, v13, v20
	v_cmp_ne_u32_e32 vcc, v8, v15
	v_cndmask_b32_e64 v8, 0, 1, vcc
	v_cmp_ne_u32_e32 vcc, v13, v17
	v_cndmask_b32_e64 v13, 0, 1, vcc
	v_or_b32_e32 v8, v19, v8
	v_cmp_gt_i32_e32 vcc, 1, v12
	v_cndmask_b32_e32 v8, v16, v8, vcc
	v_or_b32_e32 v13, v20, v13
	v_cmp_gt_i32_e32 vcc, 1, v14
	v_and_b32_e32 v15, 7, v8
	v_cndmask_b32_e32 v13, v18, v13, vcc
	v_cmp_lt_i32_e32 vcc, 5, v15
	v_cmp_eq_u32_e64 s[0:1], 3, v15
	v_lshrrev_b32_e32 v8, 2, v8
	v_and_b32_e32 v16, 7, v13
	s_or_b64 vcc, s[0:1], vcc
	v_cmp_lt_i32_e64 s[2:3], 5, v16
	v_cmp_eq_u32_e64 s[4:5], 3, v16
	v_addc_co_u32_e32 v8, vcc, 0, v8, vcc
	v_lshrrev_b32_e32 v13, 2, v13
	s_or_b64 vcc, s[4:5], s[2:3]
	v_addc_co_u32_e32 v13, vcc, 0, v13, vcc
	v_cmp_gt_i32_e32 vcc, 31, v12
	v_cndmask_b32_e32 v8, v0, v8, vcc
	v_cmp_gt_i32_e32 vcc, 31, v14
	v_lshl_or_b32 v6, v6, 9, v0
	v_cndmask_b32_e32 v13, v0, v13, vcc
	v_cmp_eq_u32_e32 vcc, s18, v12
	v_lshrrev_b32_e32 v9, 16, v9
	v_lshl_or_b32 v10, v10, 9, v0
	v_cndmask_b32_e32 v6, v8, v6, vcc
	v_cmp_eq_u32_e32 vcc, s18, v14
	v_lshrrev_b32_e32 v11, 16, v11
	v_cndmask_b32_e32 v8, v13, v10, vcc
	v_and_or_b32 v6, v9, s17, v6
	v_and_or_b32 v8, v11, s17, v8
	v_and_b32_e32 v6, 0xffff, v6
	v_lshl_or_b32 v6, v8, 16, v6
	global_store_dword v[4:5], v6, off
	global_load_dword v6, v26, s[6:7] offset:120
	v_lshrrev_b32_e32 v8, 16, v7
	v_mov_b32_e32 v10, s12
	v_add_co_u32_e32 v4, vcc, s11, v4
	v_addc_co_u32_e32 v5, vcc, v5, v10, vcc
	s_waitcnt vmcnt(0)
	v_mul_f16_sdwa v9, v8, v6 dst_sel:DWORD dst_unused:UNUSED_PAD src0_sel:DWORD src1_sel:WORD_1
	v_fma_f16 v9, v7, v6, v9
	v_mul_f16_sdwa v7, v7, v6 dst_sel:DWORD dst_unused:UNUSED_PAD src0_sel:DWORD src1_sel:WORD_1
	v_cvt_f32_f16_e32 v9, v9
	v_fma_f16 v6, v6, v8, -v7
	v_cvt_f32_f16_e32 v8, v6
	v_cvt_f64_f32_e32 v[6:7], v9
	v_cvt_f64_f32_e32 v[8:9], v8
	v_mul_f64 v[6:7], v[6:7], s[14:15]
	v_mul_f64 v[8:9], v[8:9], s[14:15]
	v_and_or_b32 v6, v7, s16, v6
	v_cmp_ne_u32_e32 vcc, 0, v6
	v_and_or_b32 v8, v9, s16, v8
	v_lshrrev_b32_e32 v10, 8, v7
	v_bfe_u32 v11, v7, 20, 11
	v_cndmask_b32_e64 v6, 0, 1, vcc
	v_cmp_ne_u32_e32 vcc, 0, v8
	v_lshrrev_b32_e32 v12, 8, v9
	v_bfe_u32 v13, v9, 20, 11
	v_sub_u32_e32 v14, 0x3f1, v11
	v_cndmask_b32_e64 v8, 0, 1, vcc
	v_and_or_b32 v6, v10, s10, v6
	v_sub_u32_e32 v15, 0x3f1, v13
	v_med3_i32 v10, v14, 0, 13
	v_and_or_b32 v8, v12, s10, v8
	v_or_b32_e32 v14, 0x1000, v6
	v_add_u32_e32 v11, 0xfffffc10, v11
	v_med3_i32 v12, v15, 0, 13
	v_cmp_ne_u32_e32 vcc, 0, v6
	v_or_b32_e32 v16, 0x1000, v8
	v_lshrrev_b32_e32 v18, v10, v14
	v_add_u32_e32 v13, 0xfffffc10, v13
	v_lshl_or_b32 v15, v11, 12, v6
	v_cndmask_b32_e64 v6, 0, 1, vcc
	v_cmp_ne_u32_e32 vcc, 0, v8
	v_lshrrev_b32_e32 v19, v12, v16
	v_lshlrev_b32_e32 v10, v10, v18
	v_lshl_or_b32 v17, v13, 12, v8
	v_cndmask_b32_e64 v8, 0, 1, vcc
	v_lshlrev_b32_e32 v12, v12, v19
	v_cmp_ne_u32_e32 vcc, v10, v14
	v_cndmask_b32_e64 v10, 0, 1, vcc
	v_cmp_ne_u32_e32 vcc, v12, v16
	v_cndmask_b32_e64 v12, 0, 1, vcc
	v_or_b32_e32 v10, v18, v10
	v_cmp_gt_i32_e32 vcc, 1, v11
	v_cndmask_b32_e32 v10, v15, v10, vcc
	v_or_b32_e32 v12, v19, v12
	v_cmp_gt_i32_e32 vcc, 1, v13
	v_and_b32_e32 v14, 7, v10
	v_cndmask_b32_e32 v12, v17, v12, vcc
	v_cmp_lt_i32_e32 vcc, 5, v14
	v_cmp_eq_u32_e64 s[0:1], 3, v14
	v_lshrrev_b32_e32 v10, 2, v10
	v_and_b32_e32 v15, 7, v12
	s_or_b64 vcc, s[0:1], vcc
	v_cmp_lt_i32_e64 s[2:3], 5, v15
	v_cmp_eq_u32_e64 s[4:5], 3, v15
	v_addc_co_u32_e32 v10, vcc, 0, v10, vcc
	v_lshrrev_b32_e32 v12, 2, v12
	s_or_b64 vcc, s[4:5], s[2:3]
	v_addc_co_u32_e32 v12, vcc, 0, v12, vcc
	v_cmp_gt_i32_e32 vcc, 31, v11
	v_cndmask_b32_e32 v10, v0, v10, vcc
	v_cmp_gt_i32_e32 vcc, 31, v13
	v_lshl_or_b32 v6, v6, 9, v0
	v_cndmask_b32_e32 v12, v0, v12, vcc
	v_cmp_eq_u32_e32 vcc, s18, v11
	v_lshrrev_b32_e32 v7, 16, v7
	v_lshl_or_b32 v8, v8, 9, v0
	v_cndmask_b32_e32 v6, v10, v6, vcc
	v_cmp_eq_u32_e32 vcc, s18, v13
	v_lshrrev_b32_e32 v9, 16, v9
	v_cndmask_b32_e32 v8, v12, v8, vcc
	v_and_or_b32 v6, v7, s17, v6
	v_and_or_b32 v7, v9, s17, v8
	v_and_b32_e32 v6, 0xffff, v6
	v_lshl_or_b32 v6, v7, 16, v6
	global_store_dword v[4:5], v6, off
	global_load_dword v8, v26, s[6:7] offset:140
	ds_read2_b32 v[6:7], v3 offset0:35 offset1:40
	v_add_co_u32_e32 v4, vcc, s11, v4
	s_waitcnt lgkmcnt(0)
	v_lshrrev_b32_e32 v9, 16, v6
	s_waitcnt vmcnt(0)
	v_mul_f16_sdwa v10, v9, v8 dst_sel:DWORD dst_unused:UNUSED_PAD src0_sel:DWORD src1_sel:WORD_1
	v_fma_f16 v10, v6, v8, v10
	v_mul_f16_sdwa v6, v6, v8 dst_sel:DWORD dst_unused:UNUSED_PAD src0_sel:DWORD src1_sel:WORD_1
	v_cvt_f32_f16_e32 v10, v10
	v_fma_f16 v6, v8, v9, -v6
	v_cvt_f32_f16_e32 v6, v6
	v_cvt_f64_f32_e32 v[8:9], v10
	v_cvt_f64_f32_e32 v[10:11], v6
	v_mov_b32_e32 v6, s12
	v_mul_f64 v[8:9], v[8:9], s[14:15]
	v_addc_co_u32_e32 v5, vcc, v5, v6, vcc
	v_mul_f64 v[10:11], v[10:11], s[14:15]
	v_and_or_b32 v6, v9, s16, v8
	v_cmp_ne_u32_e32 vcc, 0, v6
	v_lshrrev_b32_e32 v8, 8, v9
	v_and_or_b32 v10, v11, s16, v10
	v_bfe_u32 v12, v9, 20, 11
	v_cndmask_b32_e64 v6, 0, 1, vcc
	v_cmp_ne_u32_e32 vcc, 0, v10
	v_lshrrev_b32_e32 v13, 8, v11
	v_bfe_u32 v14, v11, 20, 11
	v_sub_u32_e32 v15, 0x3f1, v12
	v_cndmask_b32_e64 v10, 0, 1, vcc
	v_and_or_b32 v6, v8, s10, v6
	v_sub_u32_e32 v16, 0x3f1, v14
	v_med3_i32 v8, v15, 0, 13
	v_and_or_b32 v10, v13, s10, v10
	v_or_b32_e32 v15, 0x1000, v6
	v_add_u32_e32 v12, 0xfffffc10, v12
	v_med3_i32 v13, v16, 0, 13
	v_cmp_ne_u32_e32 vcc, 0, v6
	v_or_b32_e32 v17, 0x1000, v10
	v_lshrrev_b32_e32 v19, v8, v15
	v_add_u32_e32 v14, 0xfffffc10, v14
	v_lshl_or_b32 v16, v12, 12, v6
	v_cndmask_b32_e64 v6, 0, 1, vcc
	v_cmp_ne_u32_e32 vcc, 0, v10
	v_lshrrev_b32_e32 v20, v13, v17
	v_lshlrev_b32_e32 v8, v8, v19
	v_lshl_or_b32 v18, v14, 12, v10
	v_cndmask_b32_e64 v10, 0, 1, vcc
	v_lshlrev_b32_e32 v13, v13, v20
	v_cmp_ne_u32_e32 vcc, v8, v15
	v_cndmask_b32_e64 v8, 0, 1, vcc
	v_cmp_ne_u32_e32 vcc, v13, v17
	v_cndmask_b32_e64 v13, 0, 1, vcc
	v_or_b32_e32 v8, v19, v8
	v_cmp_gt_i32_e32 vcc, 1, v12
	v_cndmask_b32_e32 v8, v16, v8, vcc
	v_or_b32_e32 v13, v20, v13
	v_cmp_gt_i32_e32 vcc, 1, v14
	v_and_b32_e32 v15, 7, v8
	v_cndmask_b32_e32 v13, v18, v13, vcc
	v_cmp_lt_i32_e32 vcc, 5, v15
	v_cmp_eq_u32_e64 s[0:1], 3, v15
	v_lshrrev_b32_e32 v8, 2, v8
	v_and_b32_e32 v16, 7, v13
	s_or_b64 vcc, s[0:1], vcc
	v_cmp_lt_i32_e64 s[2:3], 5, v16
	v_cmp_eq_u32_e64 s[4:5], 3, v16
	v_addc_co_u32_e32 v8, vcc, 0, v8, vcc
	v_lshrrev_b32_e32 v13, 2, v13
	s_or_b64 vcc, s[4:5], s[2:3]
	v_addc_co_u32_e32 v13, vcc, 0, v13, vcc
	v_cmp_gt_i32_e32 vcc, 31, v12
	v_cndmask_b32_e32 v8, v0, v8, vcc
	v_cmp_gt_i32_e32 vcc, 31, v14
	v_lshl_or_b32 v6, v6, 9, v0
	v_cndmask_b32_e32 v13, v0, v13, vcc
	v_cmp_eq_u32_e32 vcc, s18, v12
	v_lshrrev_b32_e32 v9, 16, v9
	v_lshl_or_b32 v10, v10, 9, v0
	v_cndmask_b32_e32 v6, v8, v6, vcc
	v_cmp_eq_u32_e32 vcc, s18, v14
	v_lshrrev_b32_e32 v11, 16, v11
	v_cndmask_b32_e32 v8, v13, v10, vcc
	v_and_or_b32 v6, v9, s17, v6
	v_and_or_b32 v8, v11, s17, v8
	v_and_b32_e32 v6, 0xffff, v6
	v_lshl_or_b32 v6, v8, 16, v6
	global_store_dword v[4:5], v6, off
	global_load_dword v10, v26, s[6:7] offset:160
	v_mad_u64_u32 v[8:9], s[0:1], s8, v27, 0
	v_mov_b32_e32 v6, v9
	v_lshrrev_b32_e32 v9, 16, v7
	s_waitcnt vmcnt(0)
	v_mul_f16_sdwa v11, v9, v10 dst_sel:DWORD dst_unused:UNUSED_PAD src0_sel:DWORD src1_sel:WORD_1
	v_fma_f16 v11, v7, v10, v11
	v_mul_f16_sdwa v7, v7, v10 dst_sel:DWORD dst_unused:UNUSED_PAD src0_sel:DWORD src1_sel:WORD_1
	v_cvt_f32_f16_e32 v11, v11
	v_fma_f16 v7, v10, v9, -v7
	v_cvt_f32_f16_e32 v12, v7
	v_mad_u64_u32 v[6:7], s[0:1], s9, v27, v[6:7]
	v_cvt_f64_f32_e32 v[9:10], v11
	v_cvt_f64_f32_e32 v[11:12], v12
	v_mul_f64 v[13:14], v[9:10], s[14:15]
	v_mov_b32_e32 v9, v6
	v_lshlrev_b64 v[6:7], 2, v[8:9]
	v_mul_f64 v[8:9], v[11:12], s[14:15]
	v_add_co_u32_e32 v6, vcc, v1, v6
	v_addc_co_u32_e32 v7, vcc, v2, v7, vcc
	v_and_or_b32 v10, v14, s16, v13
	v_cmp_ne_u32_e32 vcc, 0, v10
	v_lshrrev_b32_e32 v11, 8, v14
	v_and_or_b32 v8, v9, s16, v8
	v_bfe_u32 v12, v14, 20, 11
	v_cndmask_b32_e64 v10, 0, 1, vcc
	v_cmp_ne_u32_e32 vcc, 0, v8
	v_lshrrev_b32_e32 v13, 16, v14
	v_lshrrev_b32_e32 v14, 8, v9
	v_bfe_u32 v15, v9, 20, 11
	v_sub_u32_e32 v16, 0x3f1, v12
	v_cndmask_b32_e64 v8, 0, 1, vcc
	v_and_or_b32 v10, v11, s10, v10
	v_sub_u32_e32 v17, 0x3f1, v15
	v_med3_i32 v11, v16, 0, 13
	v_and_or_b32 v8, v14, s10, v8
	v_or_b32_e32 v16, 0x1000, v10
	v_add_u32_e32 v12, 0xfffffc10, v12
	v_med3_i32 v14, v17, 0, 13
	v_cmp_ne_u32_e32 vcc, 0, v10
	v_or_b32_e32 v18, 0x1000, v8
	v_lshrrev_b32_e32 v20, v11, v16
	v_add_u32_e32 v15, 0xfffffc10, v15
	v_lshl_or_b32 v17, v12, 12, v10
	v_cndmask_b32_e64 v10, 0, 1, vcc
	v_cmp_ne_u32_e32 vcc, 0, v8
	v_lshrrev_b32_e32 v21, v14, v18
	v_lshlrev_b32_e32 v11, v11, v20
	v_lshl_or_b32 v19, v15, 12, v8
	v_cndmask_b32_e64 v8, 0, 1, vcc
	v_lshlrev_b32_e32 v14, v14, v21
	v_cmp_ne_u32_e32 vcc, v11, v16
	v_cndmask_b32_e64 v11, 0, 1, vcc
	v_cmp_ne_u32_e32 vcc, v14, v18
	v_cndmask_b32_e64 v14, 0, 1, vcc
	v_or_b32_e32 v11, v20, v11
	v_cmp_gt_i32_e32 vcc, 1, v12
	v_cndmask_b32_e32 v11, v17, v11, vcc
	v_or_b32_e32 v14, v21, v14
	v_cmp_gt_i32_e32 vcc, 1, v15
	v_and_b32_e32 v16, 7, v11
	v_cndmask_b32_e32 v14, v19, v14, vcc
	v_cmp_lt_i32_e32 vcc, 5, v16
	v_cmp_eq_u32_e64 s[0:1], 3, v16
	v_lshrrev_b32_e32 v11, 2, v11
	v_and_b32_e32 v17, 7, v14
	s_or_b64 vcc, s[0:1], vcc
	v_cmp_lt_i32_e64 s[2:3], 5, v17
	v_cmp_eq_u32_e64 s[4:5], 3, v17
	v_addc_co_u32_e32 v11, vcc, 0, v11, vcc
	v_lshrrev_b32_e32 v14, 2, v14
	s_or_b64 vcc, s[4:5], s[2:3]
	v_addc_co_u32_e32 v14, vcc, 0, v14, vcc
	v_cmp_gt_i32_e32 vcc, 31, v12
	v_cndmask_b32_e32 v11, v0, v11, vcc
	v_cmp_gt_i32_e32 vcc, 31, v15
	v_lshl_or_b32 v10, v10, 9, v0
	v_cndmask_b32_e32 v14, v0, v14, vcc
	v_cmp_eq_u32_e32 vcc, s18, v12
	v_lshl_or_b32 v8, v8, 9, v0
	v_cndmask_b32_e32 v10, v11, v10, vcc
	v_cmp_eq_u32_e32 vcc, s18, v15
	v_lshrrev_b32_e32 v9, 16, v9
	v_cndmask_b32_e32 v8, v14, v8, vcc
	v_and_or_b32 v10, v13, s17, v10
	v_and_or_b32 v8, v9, s17, v8
	v_and_b32_e32 v9, 0xffff, v10
	v_lshl_or_b32 v8, v8, 16, v9
	global_store_dword v[6:7], v8, off
	global_load_dword v8, v26, s[6:7] offset:180
	ds_read2_b32 v[6:7], v3 offset0:45 offset1:50
	v_mad_u64_u32 v[4:5], s[0:1], s8, 40, v[4:5]
	s_waitcnt lgkmcnt(0)
	v_lshrrev_b32_e32 v9, 16, v6
	s_waitcnt vmcnt(0)
	v_mul_f16_sdwa v10, v9, v8 dst_sel:DWORD dst_unused:UNUSED_PAD src0_sel:DWORD src1_sel:WORD_1
	v_fma_f16 v10, v6, v8, v10
	v_mul_f16_sdwa v6, v6, v8 dst_sel:DWORD dst_unused:UNUSED_PAD src0_sel:DWORD src1_sel:WORD_1
	v_cvt_f32_f16_e32 v10, v10
	v_fma_f16 v6, v8, v9, -v6
	v_cvt_f32_f16_e32 v6, v6
	v_cvt_f64_f32_e32 v[8:9], v10
	v_cvt_f64_f32_e32 v[10:11], v6
	v_mad_u64_u32 v[5:6], s[0:1], s9, 40, v[5:6]
	v_mul_f64 v[8:9], v[8:9], s[14:15]
	v_mul_f64 v[10:11], v[10:11], s[14:15]
	v_and_or_b32 v6, v9, s16, v8
	v_and_or_b32 v10, v11, s16, v10
	v_cmp_ne_u32_e32 vcc, 0, v6
	v_lshrrev_b32_e32 v8, 8, v9
	v_bfe_u32 v12, v9, 20, 11
	v_cndmask_b32_e64 v6, 0, 1, vcc
	v_cmp_ne_u32_e32 vcc, 0, v10
	v_lshrrev_b32_e32 v13, 8, v11
	v_bfe_u32 v14, v11, 20, 11
	v_sub_u32_e32 v15, 0x3f1, v12
	v_cndmask_b32_e64 v10, 0, 1, vcc
	v_and_or_b32 v6, v8, s10, v6
	v_sub_u32_e32 v16, 0x3f1, v14
	v_med3_i32 v8, v15, 0, 13
	v_and_or_b32 v10, v13, s10, v10
	v_or_b32_e32 v15, 0x1000, v6
	v_add_u32_e32 v12, 0xfffffc10, v12
	v_med3_i32 v13, v16, 0, 13
	v_cmp_ne_u32_e32 vcc, 0, v6
	v_or_b32_e32 v17, 0x1000, v10
	v_lshrrev_b32_e32 v19, v8, v15
	v_add_u32_e32 v14, 0xfffffc10, v14
	v_lshl_or_b32 v16, v12, 12, v6
	v_cndmask_b32_e64 v6, 0, 1, vcc
	v_cmp_ne_u32_e32 vcc, 0, v10
	v_lshrrev_b32_e32 v20, v13, v17
	v_lshlrev_b32_e32 v8, v8, v19
	v_lshl_or_b32 v18, v14, 12, v10
	v_cndmask_b32_e64 v10, 0, 1, vcc
	v_lshlrev_b32_e32 v13, v13, v20
	v_cmp_ne_u32_e32 vcc, v8, v15
	v_cndmask_b32_e64 v8, 0, 1, vcc
	v_cmp_ne_u32_e32 vcc, v13, v17
	v_cndmask_b32_e64 v13, 0, 1, vcc
	v_or_b32_e32 v8, v19, v8
	v_cmp_gt_i32_e32 vcc, 1, v12
	v_cndmask_b32_e32 v8, v16, v8, vcc
	v_or_b32_e32 v13, v20, v13
	v_cmp_gt_i32_e32 vcc, 1, v14
	v_and_b32_e32 v15, 7, v8
	v_cndmask_b32_e32 v13, v18, v13, vcc
	v_cmp_lt_i32_e32 vcc, 5, v15
	v_cmp_eq_u32_e64 s[0:1], 3, v15
	v_lshrrev_b32_e32 v8, 2, v8
	v_and_b32_e32 v16, 7, v13
	s_or_b64 vcc, s[0:1], vcc
	v_cmp_lt_i32_e64 s[2:3], 5, v16
	v_cmp_eq_u32_e64 s[4:5], 3, v16
	v_addc_co_u32_e32 v8, vcc, 0, v8, vcc
	v_lshrrev_b32_e32 v13, 2, v13
	s_or_b64 vcc, s[4:5], s[2:3]
	v_addc_co_u32_e32 v13, vcc, 0, v13, vcc
	v_cmp_gt_i32_e32 vcc, 31, v12
	v_cndmask_b32_e32 v8, v0, v8, vcc
	v_cmp_gt_i32_e32 vcc, 31, v14
	v_lshl_or_b32 v6, v6, 9, v0
	v_cndmask_b32_e32 v13, v0, v13, vcc
	v_cmp_eq_u32_e32 vcc, s18, v12
	v_lshrrev_b32_e32 v9, 16, v9
	v_lshl_or_b32 v10, v10, 9, v0
	v_cndmask_b32_e32 v6, v8, v6, vcc
	v_cmp_eq_u32_e32 vcc, s18, v14
	v_lshrrev_b32_e32 v11, 16, v11
	v_cndmask_b32_e32 v8, v13, v10, vcc
	v_and_or_b32 v6, v9, s17, v6
	v_and_or_b32 v8, v11, s17, v8
	v_and_b32_e32 v6, 0xffff, v6
	v_lshl_or_b32 v6, v8, 16, v6
	global_store_dword v[4:5], v6, off
	global_load_dword v6, v26, s[6:7] offset:200
	v_lshrrev_b32_e32 v8, 16, v7
	v_mov_b32_e32 v10, s12
	v_add_co_u32_e32 v4, vcc, s11, v4
	v_addc_co_u32_e32 v5, vcc, v5, v10, vcc
	s_waitcnt vmcnt(0)
	v_mul_f16_sdwa v9, v8, v6 dst_sel:DWORD dst_unused:UNUSED_PAD src0_sel:DWORD src1_sel:WORD_1
	v_fma_f16 v9, v7, v6, v9
	v_mul_f16_sdwa v7, v7, v6 dst_sel:DWORD dst_unused:UNUSED_PAD src0_sel:DWORD src1_sel:WORD_1
	v_cvt_f32_f16_e32 v9, v9
	v_fma_f16 v6, v6, v8, -v7
	v_cvt_f32_f16_e32 v8, v6
	v_cvt_f64_f32_e32 v[6:7], v9
	v_cvt_f64_f32_e32 v[8:9], v8
	v_mul_f64 v[6:7], v[6:7], s[14:15]
	v_mul_f64 v[8:9], v[8:9], s[14:15]
	v_and_or_b32 v6, v7, s16, v6
	v_cmp_ne_u32_e32 vcc, 0, v6
	v_and_or_b32 v8, v9, s16, v8
	v_lshrrev_b32_e32 v10, 8, v7
	v_bfe_u32 v11, v7, 20, 11
	v_cndmask_b32_e64 v6, 0, 1, vcc
	v_cmp_ne_u32_e32 vcc, 0, v8
	v_lshrrev_b32_e32 v12, 8, v9
	v_bfe_u32 v13, v9, 20, 11
	v_sub_u32_e32 v14, 0x3f1, v11
	v_cndmask_b32_e64 v8, 0, 1, vcc
	v_and_or_b32 v6, v10, s10, v6
	v_sub_u32_e32 v15, 0x3f1, v13
	v_med3_i32 v10, v14, 0, 13
	v_and_or_b32 v8, v12, s10, v8
	v_or_b32_e32 v14, 0x1000, v6
	v_add_u32_e32 v11, 0xfffffc10, v11
	v_med3_i32 v12, v15, 0, 13
	v_cmp_ne_u32_e32 vcc, 0, v6
	v_or_b32_e32 v16, 0x1000, v8
	v_lshrrev_b32_e32 v18, v10, v14
	v_add_u32_e32 v13, 0xfffffc10, v13
	v_lshl_or_b32 v15, v11, 12, v6
	v_cndmask_b32_e64 v6, 0, 1, vcc
	v_cmp_ne_u32_e32 vcc, 0, v8
	v_lshrrev_b32_e32 v19, v12, v16
	v_lshlrev_b32_e32 v10, v10, v18
	v_lshl_or_b32 v17, v13, 12, v8
	v_cndmask_b32_e64 v8, 0, 1, vcc
	v_lshlrev_b32_e32 v12, v12, v19
	v_cmp_ne_u32_e32 vcc, v10, v14
	v_cndmask_b32_e64 v10, 0, 1, vcc
	v_cmp_ne_u32_e32 vcc, v12, v16
	v_cndmask_b32_e64 v12, 0, 1, vcc
	v_or_b32_e32 v10, v18, v10
	v_cmp_gt_i32_e32 vcc, 1, v11
	v_cndmask_b32_e32 v10, v15, v10, vcc
	v_or_b32_e32 v12, v19, v12
	v_cmp_gt_i32_e32 vcc, 1, v13
	v_and_b32_e32 v14, 7, v10
	v_cndmask_b32_e32 v12, v17, v12, vcc
	v_cmp_lt_i32_e32 vcc, 5, v14
	v_cmp_eq_u32_e64 s[0:1], 3, v14
	v_lshrrev_b32_e32 v10, 2, v10
	v_and_b32_e32 v15, 7, v12
	s_or_b64 vcc, s[0:1], vcc
	v_cmp_lt_i32_e64 s[2:3], 5, v15
	v_cmp_eq_u32_e64 s[4:5], 3, v15
	v_addc_co_u32_e32 v10, vcc, 0, v10, vcc
	v_lshrrev_b32_e32 v12, 2, v12
	s_or_b64 vcc, s[4:5], s[2:3]
	v_addc_co_u32_e32 v12, vcc, 0, v12, vcc
	v_cmp_gt_i32_e32 vcc, 31, v11
	v_cndmask_b32_e32 v10, v0, v10, vcc
	v_cmp_gt_i32_e32 vcc, 31, v13
	v_lshl_or_b32 v6, v6, 9, v0
	v_cndmask_b32_e32 v12, v0, v12, vcc
	v_cmp_eq_u32_e32 vcc, s18, v11
	v_lshrrev_b32_e32 v7, 16, v7
	v_lshl_or_b32 v8, v8, 9, v0
	v_cndmask_b32_e32 v6, v10, v6, vcc
	v_cmp_eq_u32_e32 vcc, s18, v13
	v_lshrrev_b32_e32 v9, 16, v9
	v_cndmask_b32_e32 v8, v12, v8, vcc
	v_and_or_b32 v6, v7, s17, v6
	v_and_or_b32 v7, v9, s17, v8
	v_and_b32_e32 v6, 0xffff, v6
	v_lshl_or_b32 v6, v7, 16, v6
	global_store_dword v[4:5], v6, off
	global_load_dword v8, v26, s[6:7] offset:220
	ds_read2_b32 v[6:7], v3 offset0:55 offset1:60
	v_add_co_u32_e32 v4, vcc, s11, v4
	s_waitcnt lgkmcnt(0)
	v_lshrrev_b32_e32 v9, 16, v6
	s_waitcnt vmcnt(0)
	v_mul_f16_sdwa v10, v9, v8 dst_sel:DWORD dst_unused:UNUSED_PAD src0_sel:DWORD src1_sel:WORD_1
	v_fma_f16 v10, v6, v8, v10
	v_mul_f16_sdwa v6, v6, v8 dst_sel:DWORD dst_unused:UNUSED_PAD src0_sel:DWORD src1_sel:WORD_1
	v_cvt_f32_f16_e32 v10, v10
	v_fma_f16 v6, v8, v9, -v6
	v_cvt_f32_f16_e32 v6, v6
	v_cvt_f64_f32_e32 v[8:9], v10
	v_cvt_f64_f32_e32 v[10:11], v6
	v_mov_b32_e32 v6, s12
	v_mul_f64 v[8:9], v[8:9], s[14:15]
	v_addc_co_u32_e32 v5, vcc, v5, v6, vcc
	v_mul_f64 v[10:11], v[10:11], s[14:15]
	v_and_or_b32 v6, v9, s16, v8
	v_cmp_ne_u32_e32 vcc, 0, v6
	v_lshrrev_b32_e32 v8, 8, v9
	v_and_or_b32 v10, v11, s16, v10
	v_bfe_u32 v12, v9, 20, 11
	v_cndmask_b32_e64 v6, 0, 1, vcc
	v_cmp_ne_u32_e32 vcc, 0, v10
	v_lshrrev_b32_e32 v13, 8, v11
	v_bfe_u32 v14, v11, 20, 11
	v_sub_u32_e32 v15, 0x3f1, v12
	v_cndmask_b32_e64 v10, 0, 1, vcc
	v_and_or_b32 v6, v8, s10, v6
	v_sub_u32_e32 v16, 0x3f1, v14
	v_med3_i32 v8, v15, 0, 13
	v_and_or_b32 v10, v13, s10, v10
	v_or_b32_e32 v15, 0x1000, v6
	v_add_u32_e32 v12, 0xfffffc10, v12
	v_med3_i32 v13, v16, 0, 13
	v_cmp_ne_u32_e32 vcc, 0, v6
	v_or_b32_e32 v17, 0x1000, v10
	v_lshrrev_b32_e32 v19, v8, v15
	v_add_u32_e32 v14, 0xfffffc10, v14
	v_lshl_or_b32 v16, v12, 12, v6
	v_cndmask_b32_e64 v6, 0, 1, vcc
	v_cmp_ne_u32_e32 vcc, 0, v10
	v_lshrrev_b32_e32 v20, v13, v17
	v_lshlrev_b32_e32 v8, v8, v19
	v_lshl_or_b32 v18, v14, 12, v10
	v_cndmask_b32_e64 v10, 0, 1, vcc
	v_lshlrev_b32_e32 v13, v13, v20
	v_cmp_ne_u32_e32 vcc, v8, v15
	v_cndmask_b32_e64 v8, 0, 1, vcc
	v_cmp_ne_u32_e32 vcc, v13, v17
	v_cndmask_b32_e64 v13, 0, 1, vcc
	v_or_b32_e32 v8, v19, v8
	v_cmp_gt_i32_e32 vcc, 1, v12
	v_cndmask_b32_e32 v8, v16, v8, vcc
	v_or_b32_e32 v13, v20, v13
	v_cmp_gt_i32_e32 vcc, 1, v14
	v_and_b32_e32 v15, 7, v8
	v_cndmask_b32_e32 v13, v18, v13, vcc
	v_cmp_lt_i32_e32 vcc, 5, v15
	v_cmp_eq_u32_e64 s[0:1], 3, v15
	v_lshrrev_b32_e32 v8, 2, v8
	v_and_b32_e32 v16, 7, v13
	s_or_b64 vcc, s[0:1], vcc
	v_cmp_lt_i32_e64 s[2:3], 5, v16
	v_cmp_eq_u32_e64 s[4:5], 3, v16
	v_addc_co_u32_e32 v8, vcc, 0, v8, vcc
	v_lshrrev_b32_e32 v13, 2, v13
	s_or_b64 vcc, s[4:5], s[2:3]
	v_addc_co_u32_e32 v13, vcc, 0, v13, vcc
	v_cmp_gt_i32_e32 vcc, 31, v12
	v_cndmask_b32_e32 v8, v0, v8, vcc
	v_cmp_gt_i32_e32 vcc, 31, v14
	v_lshl_or_b32 v6, v6, 9, v0
	v_cndmask_b32_e32 v13, v0, v13, vcc
	v_cmp_eq_u32_e32 vcc, s18, v12
	v_lshrrev_b32_e32 v9, 16, v9
	v_lshl_or_b32 v10, v10, 9, v0
	v_cndmask_b32_e32 v6, v8, v6, vcc
	v_cmp_eq_u32_e32 vcc, s18, v14
	v_lshrrev_b32_e32 v11, 16, v11
	v_cndmask_b32_e32 v8, v13, v10, vcc
	v_and_or_b32 v6, v9, s17, v6
	v_and_or_b32 v8, v11, s17, v8
	v_and_b32_e32 v6, 0xffff, v6
	v_lshl_or_b32 v6, v8, 16, v6
	global_store_dword v[4:5], v6, off
	global_load_dword v6, v26, s[6:7] offset:240
	v_lshrrev_b32_e32 v8, 16, v7
	v_mov_b32_e32 v10, s12
	v_add_co_u32_e32 v4, vcc, s11, v4
	v_addc_co_u32_e32 v5, vcc, v5, v10, vcc
	s_waitcnt vmcnt(0)
	v_mul_f16_sdwa v9, v8, v6 dst_sel:DWORD dst_unused:UNUSED_PAD src0_sel:DWORD src1_sel:WORD_1
	v_fma_f16 v9, v7, v6, v9
	v_mul_f16_sdwa v7, v7, v6 dst_sel:DWORD dst_unused:UNUSED_PAD src0_sel:DWORD src1_sel:WORD_1
	v_cvt_f32_f16_e32 v9, v9
	v_fma_f16 v6, v6, v8, -v7
	v_cvt_f32_f16_e32 v8, v6
	v_cvt_f64_f32_e32 v[6:7], v9
	v_cvt_f64_f32_e32 v[8:9], v8
	v_mul_f64 v[6:7], v[6:7], s[14:15]
	v_mul_f64 v[8:9], v[8:9], s[14:15]
	v_and_or_b32 v6, v7, s16, v6
	v_cmp_ne_u32_e32 vcc, 0, v6
	v_and_or_b32 v8, v9, s16, v8
	v_lshrrev_b32_e32 v10, 8, v7
	v_bfe_u32 v11, v7, 20, 11
	v_cndmask_b32_e64 v6, 0, 1, vcc
	v_cmp_ne_u32_e32 vcc, 0, v8
	v_lshrrev_b32_e32 v12, 8, v9
	v_bfe_u32 v13, v9, 20, 11
	v_sub_u32_e32 v14, 0x3f1, v11
	v_cndmask_b32_e64 v8, 0, 1, vcc
	v_and_or_b32 v6, v10, s10, v6
	v_sub_u32_e32 v15, 0x3f1, v13
	v_med3_i32 v10, v14, 0, 13
	v_and_or_b32 v8, v12, s10, v8
	v_or_b32_e32 v14, 0x1000, v6
	v_add_u32_e32 v11, 0xfffffc10, v11
	v_med3_i32 v12, v15, 0, 13
	v_cmp_ne_u32_e32 vcc, 0, v6
	v_or_b32_e32 v16, 0x1000, v8
	v_lshrrev_b32_e32 v18, v10, v14
	v_add_u32_e32 v13, 0xfffffc10, v13
	v_lshl_or_b32 v15, v11, 12, v6
	v_cndmask_b32_e64 v6, 0, 1, vcc
	v_cmp_ne_u32_e32 vcc, 0, v8
	v_lshrrev_b32_e32 v19, v12, v16
	v_lshlrev_b32_e32 v10, v10, v18
	v_lshl_or_b32 v17, v13, 12, v8
	v_cndmask_b32_e64 v8, 0, 1, vcc
	v_lshlrev_b32_e32 v12, v12, v19
	v_cmp_ne_u32_e32 vcc, v10, v14
	v_cndmask_b32_e64 v10, 0, 1, vcc
	v_cmp_ne_u32_e32 vcc, v12, v16
	v_cndmask_b32_e64 v12, 0, 1, vcc
	v_or_b32_e32 v10, v18, v10
	v_cmp_gt_i32_e32 vcc, 1, v11
	v_cndmask_b32_e32 v10, v15, v10, vcc
	v_or_b32_e32 v12, v19, v12
	v_cmp_gt_i32_e32 vcc, 1, v13
	v_and_b32_e32 v14, 7, v10
	v_cndmask_b32_e32 v12, v17, v12, vcc
	v_cmp_lt_i32_e32 vcc, 5, v14
	v_cmp_eq_u32_e64 s[0:1], 3, v14
	v_lshrrev_b32_e32 v10, 2, v10
	v_and_b32_e32 v15, 7, v12
	s_or_b64 vcc, s[0:1], vcc
	v_cmp_lt_i32_e64 s[2:3], 5, v15
	v_cmp_eq_u32_e64 s[4:5], 3, v15
	v_addc_co_u32_e32 v10, vcc, 0, v10, vcc
	v_lshrrev_b32_e32 v12, 2, v12
	s_or_b64 vcc, s[4:5], s[2:3]
	v_addc_co_u32_e32 v12, vcc, 0, v12, vcc
	v_cmp_gt_i32_e32 vcc, 31, v11
	v_cndmask_b32_e32 v10, v0, v10, vcc
	v_cmp_gt_i32_e32 vcc, 31, v13
	v_lshl_or_b32 v6, v6, 9, v0
	v_cndmask_b32_e32 v12, v0, v12, vcc
	v_cmp_eq_u32_e32 vcc, s18, v11
	v_lshrrev_b32_e32 v7, 16, v7
	v_lshl_or_b32 v8, v8, 9, v0
	v_cndmask_b32_e32 v6, v10, v6, vcc
	v_cmp_eq_u32_e32 vcc, s18, v13
	v_lshrrev_b32_e32 v9, 16, v9
	v_cndmask_b32_e32 v8, v12, v8, vcc
	v_and_or_b32 v6, v7, s17, v6
	v_and_or_b32 v7, v9, s17, v8
	v_and_b32_e32 v6, 0xffff, v6
	v_lshl_or_b32 v6, v7, 16, v6
	global_store_dword v[4:5], v6, off
	global_load_dword v8, v26, s[6:7] offset:260
	ds_read2_b32 v[6:7], v3 offset0:65 offset1:70
	v_add_co_u32_e32 v4, vcc, s11, v4
	s_waitcnt lgkmcnt(0)
	v_lshrrev_b32_e32 v9, 16, v6
	s_waitcnt vmcnt(0)
	v_mul_f16_sdwa v10, v9, v8 dst_sel:DWORD dst_unused:UNUSED_PAD src0_sel:DWORD src1_sel:WORD_1
	v_fma_f16 v10, v6, v8, v10
	v_mul_f16_sdwa v6, v6, v8 dst_sel:DWORD dst_unused:UNUSED_PAD src0_sel:DWORD src1_sel:WORD_1
	v_cvt_f32_f16_e32 v10, v10
	v_fma_f16 v6, v8, v9, -v6
	v_cvt_f32_f16_e32 v6, v6
	v_cvt_f64_f32_e32 v[8:9], v10
	v_cvt_f64_f32_e32 v[10:11], v6
	v_mov_b32_e32 v6, s12
	v_mul_f64 v[8:9], v[8:9], s[14:15]
	v_addc_co_u32_e32 v5, vcc, v5, v6, vcc
	v_mul_f64 v[10:11], v[10:11], s[14:15]
	v_and_or_b32 v6, v9, s16, v8
	v_cmp_ne_u32_e32 vcc, 0, v6
	v_lshrrev_b32_e32 v8, 8, v9
	v_and_or_b32 v10, v11, s16, v10
	v_bfe_u32 v12, v9, 20, 11
	v_cndmask_b32_e64 v6, 0, 1, vcc
	v_cmp_ne_u32_e32 vcc, 0, v10
	v_lshrrev_b32_e32 v13, 8, v11
	v_bfe_u32 v14, v11, 20, 11
	v_sub_u32_e32 v15, 0x3f1, v12
	v_cndmask_b32_e64 v10, 0, 1, vcc
	v_and_or_b32 v6, v8, s10, v6
	v_sub_u32_e32 v16, 0x3f1, v14
	v_med3_i32 v8, v15, 0, 13
	v_and_or_b32 v10, v13, s10, v10
	v_or_b32_e32 v15, 0x1000, v6
	v_add_u32_e32 v12, 0xfffffc10, v12
	v_med3_i32 v13, v16, 0, 13
	v_cmp_ne_u32_e32 vcc, 0, v6
	v_or_b32_e32 v17, 0x1000, v10
	v_lshrrev_b32_e32 v19, v8, v15
	v_add_u32_e32 v14, 0xfffffc10, v14
	v_lshl_or_b32 v16, v12, 12, v6
	v_cndmask_b32_e64 v6, 0, 1, vcc
	v_cmp_ne_u32_e32 vcc, 0, v10
	v_lshrrev_b32_e32 v20, v13, v17
	v_lshlrev_b32_e32 v8, v8, v19
	v_lshl_or_b32 v18, v14, 12, v10
	v_cndmask_b32_e64 v10, 0, 1, vcc
	v_lshlrev_b32_e32 v13, v13, v20
	v_cmp_ne_u32_e32 vcc, v8, v15
	v_cndmask_b32_e64 v8, 0, 1, vcc
	v_cmp_ne_u32_e32 vcc, v13, v17
	v_cndmask_b32_e64 v13, 0, 1, vcc
	v_or_b32_e32 v8, v19, v8
	v_cmp_gt_i32_e32 vcc, 1, v12
	v_cndmask_b32_e32 v8, v16, v8, vcc
	v_or_b32_e32 v13, v20, v13
	v_cmp_gt_i32_e32 vcc, 1, v14
	v_and_b32_e32 v15, 7, v8
	v_cndmask_b32_e32 v13, v18, v13, vcc
	v_cmp_lt_i32_e32 vcc, 5, v15
	v_cmp_eq_u32_e64 s[0:1], 3, v15
	v_lshrrev_b32_e32 v8, 2, v8
	v_and_b32_e32 v16, 7, v13
	s_or_b64 vcc, s[0:1], vcc
	v_cmp_lt_i32_e64 s[2:3], 5, v16
	v_cmp_eq_u32_e64 s[4:5], 3, v16
	v_addc_co_u32_e32 v8, vcc, 0, v8, vcc
	v_lshrrev_b32_e32 v13, 2, v13
	s_or_b64 vcc, s[4:5], s[2:3]
	v_addc_co_u32_e32 v13, vcc, 0, v13, vcc
	v_cmp_gt_i32_e32 vcc, 31, v12
	v_cndmask_b32_e32 v8, v0, v8, vcc
	v_cmp_gt_i32_e32 vcc, 31, v14
	v_lshl_or_b32 v6, v6, 9, v0
	v_cndmask_b32_e32 v13, v0, v13, vcc
	v_cmp_eq_u32_e32 vcc, s18, v12
	v_lshrrev_b32_e32 v9, 16, v9
	v_lshl_or_b32 v10, v10, 9, v0
	v_cndmask_b32_e32 v6, v8, v6, vcc
	v_cmp_eq_u32_e32 vcc, s18, v14
	v_lshrrev_b32_e32 v11, 16, v11
	v_cndmask_b32_e32 v8, v13, v10, vcc
	v_and_or_b32 v6, v9, s17, v6
	v_and_or_b32 v8, v11, s17, v8
	v_and_b32_e32 v6, 0xffff, v6
	v_lshl_or_b32 v6, v8, 16, v6
	global_store_dword v[4:5], v6, off
	global_load_dword v6, v26, s[6:7] offset:280
	v_lshrrev_b32_e32 v8, 16, v7
	v_mov_b32_e32 v10, s12
	v_add_co_u32_e32 v4, vcc, s11, v4
	v_addc_co_u32_e32 v5, vcc, v5, v10, vcc
	s_waitcnt vmcnt(0)
	v_mul_f16_sdwa v9, v8, v6 dst_sel:DWORD dst_unused:UNUSED_PAD src0_sel:DWORD src1_sel:WORD_1
	v_fma_f16 v9, v7, v6, v9
	v_mul_f16_sdwa v7, v7, v6 dst_sel:DWORD dst_unused:UNUSED_PAD src0_sel:DWORD src1_sel:WORD_1
	v_cvt_f32_f16_e32 v9, v9
	v_fma_f16 v6, v6, v8, -v7
	v_cvt_f32_f16_e32 v8, v6
	v_cvt_f64_f32_e32 v[6:7], v9
	v_cvt_f64_f32_e32 v[8:9], v8
	v_mul_f64 v[6:7], v[6:7], s[14:15]
	v_mul_f64 v[8:9], v[8:9], s[14:15]
	v_and_or_b32 v6, v7, s16, v6
	v_cmp_ne_u32_e32 vcc, 0, v6
	v_and_or_b32 v8, v9, s16, v8
	v_lshrrev_b32_e32 v10, 8, v7
	v_bfe_u32 v11, v7, 20, 11
	v_cndmask_b32_e64 v6, 0, 1, vcc
	v_cmp_ne_u32_e32 vcc, 0, v8
	v_lshrrev_b32_e32 v12, 8, v9
	v_bfe_u32 v13, v9, 20, 11
	v_sub_u32_e32 v14, 0x3f1, v11
	v_cndmask_b32_e64 v8, 0, 1, vcc
	v_and_or_b32 v6, v10, s10, v6
	v_sub_u32_e32 v15, 0x3f1, v13
	v_med3_i32 v10, v14, 0, 13
	v_and_or_b32 v8, v12, s10, v8
	v_or_b32_e32 v14, 0x1000, v6
	v_add_u32_e32 v11, 0xfffffc10, v11
	v_med3_i32 v12, v15, 0, 13
	v_cmp_ne_u32_e32 vcc, 0, v6
	v_or_b32_e32 v16, 0x1000, v8
	v_lshrrev_b32_e32 v18, v10, v14
	v_add_u32_e32 v13, 0xfffffc10, v13
	v_lshl_or_b32 v15, v11, 12, v6
	v_cndmask_b32_e64 v6, 0, 1, vcc
	v_cmp_ne_u32_e32 vcc, 0, v8
	v_lshrrev_b32_e32 v19, v12, v16
	v_lshlrev_b32_e32 v10, v10, v18
	v_lshl_or_b32 v17, v13, 12, v8
	v_cndmask_b32_e64 v8, 0, 1, vcc
	v_lshlrev_b32_e32 v12, v12, v19
	v_cmp_ne_u32_e32 vcc, v10, v14
	v_cndmask_b32_e64 v10, 0, 1, vcc
	v_cmp_ne_u32_e32 vcc, v12, v16
	v_cndmask_b32_e64 v12, 0, 1, vcc
	v_or_b32_e32 v10, v18, v10
	v_cmp_gt_i32_e32 vcc, 1, v11
	v_cndmask_b32_e32 v10, v15, v10, vcc
	v_or_b32_e32 v12, v19, v12
	v_cmp_gt_i32_e32 vcc, 1, v13
	v_and_b32_e32 v14, 7, v10
	v_cndmask_b32_e32 v12, v17, v12, vcc
	v_cmp_lt_i32_e32 vcc, 5, v14
	v_cmp_eq_u32_e64 s[0:1], 3, v14
	v_lshrrev_b32_e32 v10, 2, v10
	v_and_b32_e32 v15, 7, v12
	s_or_b64 vcc, s[0:1], vcc
	v_cmp_lt_i32_e64 s[2:3], 5, v15
	v_cmp_eq_u32_e64 s[4:5], 3, v15
	v_addc_co_u32_e32 v10, vcc, 0, v10, vcc
	v_lshrrev_b32_e32 v12, 2, v12
	s_or_b64 vcc, s[4:5], s[2:3]
	v_addc_co_u32_e32 v12, vcc, 0, v12, vcc
	v_cmp_gt_i32_e32 vcc, 31, v11
	v_cndmask_b32_e32 v10, v0, v10, vcc
	v_cmp_gt_i32_e32 vcc, 31, v13
	v_lshl_or_b32 v6, v6, 9, v0
	v_cndmask_b32_e32 v12, v0, v12, vcc
	v_cmp_eq_u32_e32 vcc, s18, v11
	v_lshrrev_b32_e32 v7, 16, v7
	v_lshl_or_b32 v8, v8, 9, v0
	v_cndmask_b32_e32 v6, v10, v6, vcc
	v_cmp_eq_u32_e32 vcc, s18, v13
	v_lshrrev_b32_e32 v9, 16, v9
	v_cndmask_b32_e32 v8, v12, v8, vcc
	v_and_or_b32 v6, v7, s17, v6
	v_and_or_b32 v7, v9, s17, v8
	v_and_b32_e32 v6, 0xffff, v6
	v_lshl_or_b32 v6, v7, 16, v6
	global_store_dword v[4:5], v6, off
	global_load_dword v8, v26, s[6:7] offset:300
	ds_read2_b32 v[6:7], v3 offset0:75 offset1:80
	s_waitcnt lgkmcnt(0)
	v_lshrrev_b32_e32 v3, 16, v6
	s_waitcnt vmcnt(0)
	v_mul_f16_sdwa v9, v3, v8 dst_sel:DWORD dst_unused:UNUSED_PAD src0_sel:DWORD src1_sel:WORD_1
	v_fma_f16 v9, v6, v8, v9
	v_mul_f16_sdwa v6, v6, v8 dst_sel:DWORD dst_unused:UNUSED_PAD src0_sel:DWORD src1_sel:WORD_1
	v_cvt_f32_f16_e32 v9, v9
	v_fma_f16 v3, v8, v3, -v6
	v_cvt_f32_f16_e32 v3, v3
	v_mov_b32_e32 v6, s12
	v_cvt_f64_f32_e32 v[8:9], v9
	v_cvt_f64_f32_e32 v[10:11], v3
	v_add_co_u32_e32 v3, vcc, s11, v4
	v_mul_f64 v[8:9], v[8:9], s[14:15]
	v_mul_f64 v[10:11], v[10:11], s[14:15]
	v_addc_co_u32_e32 v4, vcc, v5, v6, vcc
	v_and_or_b32 v5, v9, s16, v8
	v_and_or_b32 v10, v11, s16, v10
	v_cmp_ne_u32_e32 vcc, 0, v5
	v_lshrrev_b32_e32 v6, 8, v9
	v_bfe_u32 v8, v9, 20, 11
	v_cndmask_b32_e64 v5, 0, 1, vcc
	v_cmp_ne_u32_e32 vcc, 0, v10
	v_lshrrev_b32_e32 v12, 8, v11
	v_bfe_u32 v13, v11, 20, 11
	v_sub_u32_e32 v14, 0x3f1, v8
	v_cndmask_b32_e64 v10, 0, 1, vcc
	v_and_or_b32 v5, v6, s10, v5
	v_sub_u32_e32 v15, 0x3f1, v13
	v_med3_i32 v6, v14, 0, 13
	v_and_or_b32 v10, v12, s10, v10
	v_or_b32_e32 v14, 0x1000, v5
	v_add_u32_e32 v8, 0xfffffc10, v8
	v_med3_i32 v12, v15, 0, 13
	v_cmp_ne_u32_e32 vcc, 0, v5
	v_or_b32_e32 v16, 0x1000, v10
	v_lshrrev_b32_e32 v18, v6, v14
	v_add_u32_e32 v13, 0xfffffc10, v13
	v_lshl_or_b32 v15, v8, 12, v5
	v_cndmask_b32_e64 v5, 0, 1, vcc
	v_cmp_ne_u32_e32 vcc, 0, v10
	v_lshrrev_b32_e32 v19, v12, v16
	v_lshlrev_b32_e32 v6, v6, v18
	v_lshl_or_b32 v17, v13, 12, v10
	v_cndmask_b32_e64 v10, 0, 1, vcc
	v_lshlrev_b32_e32 v12, v12, v19
	v_cmp_ne_u32_e32 vcc, v6, v14
	v_cndmask_b32_e64 v6, 0, 1, vcc
	v_cmp_ne_u32_e32 vcc, v12, v16
	v_cndmask_b32_e64 v12, 0, 1, vcc
	v_or_b32_e32 v6, v18, v6
	v_cmp_gt_i32_e32 vcc, 1, v8
	v_cndmask_b32_e32 v6, v15, v6, vcc
	v_or_b32_e32 v12, v19, v12
	v_cmp_gt_i32_e32 vcc, 1, v13
	v_and_b32_e32 v14, 7, v6
	v_cndmask_b32_e32 v12, v17, v12, vcc
	v_cmp_lt_i32_e32 vcc, 5, v14
	v_cmp_eq_u32_e64 s[0:1], 3, v14
	v_lshrrev_b32_e32 v6, 2, v6
	v_and_b32_e32 v15, 7, v12
	s_or_b64 vcc, s[0:1], vcc
	v_cmp_lt_i32_e64 s[2:3], 5, v15
	v_cmp_eq_u32_e64 s[4:5], 3, v15
	v_addc_co_u32_e32 v6, vcc, 0, v6, vcc
	v_lshrrev_b32_e32 v12, 2, v12
	s_or_b64 vcc, s[4:5], s[2:3]
	v_addc_co_u32_e32 v12, vcc, 0, v12, vcc
	v_cmp_gt_i32_e32 vcc, 31, v8
	v_cndmask_b32_e32 v6, v0, v6, vcc
	v_cmp_gt_i32_e32 vcc, 31, v13
	v_lshl_or_b32 v5, v5, 9, v0
	v_cndmask_b32_e32 v12, v0, v12, vcc
	v_cmp_eq_u32_e32 vcc, s18, v8
	v_lshrrev_b32_e32 v9, 16, v9
	v_lshl_or_b32 v10, v10, 9, v0
	v_cndmask_b32_e32 v5, v6, v5, vcc
	v_cmp_eq_u32_e32 vcc, s18, v13
	v_lshrrev_b32_e32 v11, 16, v11
	v_cndmask_b32_e32 v6, v12, v10, vcc
	v_and_or_b32 v5, v9, s17, v5
	v_and_or_b32 v6, v11, s17, v6
	v_and_b32_e32 v5, 0xffff, v5
	v_lshl_or_b32 v5, v6, 16, v5
	global_store_dword v[3:4], v5, off
	global_load_dword v5, v26, s[6:7] offset:320
	v_lshrrev_b32_e32 v6, 16, v7
	v_or_b32_e32 v9, 0x50, v25
	v_mad_u64_u32 v[3:4], s[0:1], s8, v9, 0
	s_waitcnt vmcnt(0)
	v_mul_f16_sdwa v8, v6, v5 dst_sel:DWORD dst_unused:UNUSED_PAD src0_sel:DWORD src1_sel:WORD_1
	v_fma_f16 v8, v7, v5, v8
	v_cvt_f32_f16_e32 v8, v8
	v_mul_f16_sdwa v7, v7, v5 dst_sel:DWORD dst_unused:UNUSED_PAD src0_sel:DWORD src1_sel:WORD_1
	v_fma_f16 v5, v5, v6, -v7
	v_cvt_f32_f16_e32 v7, v5
	v_cvt_f64_f32_e32 v[5:6], v8
	v_cvt_f64_f32_e32 v[7:8], v7
	v_mul_f64 v[5:6], v[5:6], s[14:15]
	v_mul_f64 v[7:8], v[7:8], s[14:15]
	v_mad_u64_u32 v[9:10], s[0:1], s9, v9, v[4:5]
	v_and_or_b32 v5, v6, s16, v5
	v_and_or_b32 v7, v8, s16, v7
	v_cmp_ne_u32_e32 vcc, 0, v5
	v_mov_b32_e32 v4, v9
	v_lshrrev_b32_e32 v9, 8, v6
	v_bfe_u32 v10, v6, 20, 11
	v_cndmask_b32_e64 v5, 0, 1, vcc
	v_cmp_ne_u32_e32 vcc, 0, v7
	v_lshrrev_b32_e32 v11, 8, v8
	v_bfe_u32 v12, v8, 20, 11
	v_sub_u32_e32 v13, 0x3f1, v10
	v_cndmask_b32_e64 v7, 0, 1, vcc
	v_and_or_b32 v5, v9, s10, v5
	v_sub_u32_e32 v14, 0x3f1, v12
	v_med3_i32 v9, v13, 0, 13
	v_and_or_b32 v7, v11, s10, v7
	v_or_b32_e32 v13, 0x1000, v5
	v_add_u32_e32 v10, 0xfffffc10, v10
	v_med3_i32 v11, v14, 0, 13
	v_cmp_ne_u32_e32 vcc, 0, v5
	v_or_b32_e32 v15, 0x1000, v7
	v_lshrrev_b32_e32 v17, v9, v13
	v_add_u32_e32 v12, 0xfffffc10, v12
	v_lshl_or_b32 v14, v10, 12, v5
	v_cndmask_b32_e64 v5, 0, 1, vcc
	v_cmp_ne_u32_e32 vcc, 0, v7
	v_lshrrev_b32_e32 v18, v11, v15
	v_lshlrev_b32_e32 v9, v9, v17
	v_lshl_or_b32 v16, v12, 12, v7
	v_cndmask_b32_e64 v7, 0, 1, vcc
	v_lshlrev_b32_e32 v11, v11, v18
	v_cmp_ne_u32_e32 vcc, v9, v13
	v_cndmask_b32_e64 v9, 0, 1, vcc
	v_cmp_ne_u32_e32 vcc, v11, v15
	v_cndmask_b32_e64 v11, 0, 1, vcc
	v_or_b32_e32 v9, v17, v9
	v_cmp_gt_i32_e32 vcc, 1, v10
	v_cndmask_b32_e32 v9, v14, v9, vcc
	v_or_b32_e32 v11, v18, v11
	v_cmp_gt_i32_e32 vcc, 1, v12
	v_and_b32_e32 v13, 7, v9
	v_cndmask_b32_e32 v11, v16, v11, vcc
	v_cmp_lt_i32_e32 vcc, 5, v13
	v_cmp_eq_u32_e64 s[0:1], 3, v13
	v_lshrrev_b32_e32 v9, 2, v9
	v_and_b32_e32 v14, 7, v11
	s_or_b64 vcc, s[0:1], vcc
	v_cmp_lt_i32_e64 s[2:3], 5, v14
	v_cmp_eq_u32_e64 s[4:5], 3, v14
	v_addc_co_u32_e32 v9, vcc, 0, v9, vcc
	v_lshrrev_b32_e32 v11, 2, v11
	s_or_b64 vcc, s[4:5], s[2:3]
	v_addc_co_u32_e32 v11, vcc, 0, v11, vcc
	v_cmp_gt_i32_e32 vcc, 31, v10
	v_cndmask_b32_e32 v9, v0, v9, vcc
	v_cmp_gt_i32_e32 vcc, 31, v12
	v_lshl_or_b32 v5, v5, 9, v0
	v_lshl_or_b32 v7, v7, 9, v0
	v_cndmask_b32_e32 v0, v0, v11, vcc
	v_cmp_eq_u32_e32 vcc, s18, v10
	v_lshrrev_b32_e32 v6, 16, v6
	v_cndmask_b32_e32 v5, v9, v5, vcc
	v_cmp_eq_u32_e32 vcc, s18, v12
	v_lshlrev_b64 v[3:4], 2, v[3:4]
	v_lshrrev_b32_e32 v8, 16, v8
	v_cndmask_b32_e32 v0, v0, v7, vcc
	v_and_or_b32 v5, v6, s17, v5
	v_and_or_b32 v0, v8, s17, v0
	v_and_b32_e32 v5, 0xffff, v5
	v_lshl_or_b32 v5, v0, 16, v5
	v_add_co_u32_e32 v0, vcc, v1, v3
	v_addc_co_u32_e32 v1, vcc, v2, v4, vcc
	global_store_dword v[0:1], v5, off
.LBB0_15:
	s_endpgm
	.section	.rodata,"a",@progbits
	.p2align	6, 0x0
	.amdhsa_kernel bluestein_single_fwd_len85_dim1_half_op_CI_CI
		.amdhsa_group_segment_fixed_size 5100
		.amdhsa_private_segment_fixed_size 0
		.amdhsa_kernarg_size 104
		.amdhsa_user_sgpr_count 6
		.amdhsa_user_sgpr_private_segment_buffer 1
		.amdhsa_user_sgpr_dispatch_ptr 0
		.amdhsa_user_sgpr_queue_ptr 0
		.amdhsa_user_sgpr_kernarg_segment_ptr 1
		.amdhsa_user_sgpr_dispatch_id 0
		.amdhsa_user_sgpr_flat_scratch_init 0
		.amdhsa_user_sgpr_private_segment_size 0
		.amdhsa_uses_dynamic_stack 0
		.amdhsa_system_sgpr_private_segment_wavefront_offset 0
		.amdhsa_system_sgpr_workgroup_id_x 1
		.amdhsa_system_sgpr_workgroup_id_y 0
		.amdhsa_system_sgpr_workgroup_id_z 0
		.amdhsa_system_sgpr_workgroup_info 0
		.amdhsa_system_vgpr_workitem_id 0
		.amdhsa_next_free_vgpr 207
		.amdhsa_next_free_sgpr 35
		.amdhsa_reserve_vcc 1
		.amdhsa_reserve_flat_scratch 0
		.amdhsa_float_round_mode_32 0
		.amdhsa_float_round_mode_16_64 0
		.amdhsa_float_denorm_mode_32 3
		.amdhsa_float_denorm_mode_16_64 3
		.amdhsa_dx10_clamp 1
		.amdhsa_ieee_mode 1
		.amdhsa_fp16_overflow 0
		.amdhsa_exception_fp_ieee_invalid_op 0
		.amdhsa_exception_fp_denorm_src 0
		.amdhsa_exception_fp_ieee_div_zero 0
		.amdhsa_exception_fp_ieee_overflow 0
		.amdhsa_exception_fp_ieee_underflow 0
		.amdhsa_exception_fp_ieee_inexact 0
		.amdhsa_exception_int_div_zero 0
	.end_amdhsa_kernel
	.text
.Lfunc_end0:
	.size	bluestein_single_fwd_len85_dim1_half_op_CI_CI, .Lfunc_end0-bluestein_single_fwd_len85_dim1_half_op_CI_CI
                                        ; -- End function
	.section	.AMDGPU.csdata,"",@progbits
; Kernel info:
; codeLenInByte = 23484
; NumSgprs: 39
; NumVgprs: 207
; ScratchSize: 0
; MemoryBound: 0
; FloatMode: 240
; IeeeMode: 1
; LDSByteSize: 5100 bytes/workgroup (compile time only)
; SGPRBlocks: 4
; VGPRBlocks: 51
; NumSGPRsForWavesPerEU: 39
; NumVGPRsForWavesPerEU: 207
; Occupancy: 1
; WaveLimiterHint : 1
; COMPUTE_PGM_RSRC2:SCRATCH_EN: 0
; COMPUTE_PGM_RSRC2:USER_SGPR: 6
; COMPUTE_PGM_RSRC2:TRAP_HANDLER: 0
; COMPUTE_PGM_RSRC2:TGID_X_EN: 1
; COMPUTE_PGM_RSRC2:TGID_Y_EN: 0
; COMPUTE_PGM_RSRC2:TGID_Z_EN: 0
; COMPUTE_PGM_RSRC2:TIDIG_COMP_CNT: 0
	.type	__hip_cuid_43fa574f5505464c,@object ; @__hip_cuid_43fa574f5505464c
	.section	.bss,"aw",@nobits
	.globl	__hip_cuid_43fa574f5505464c
__hip_cuid_43fa574f5505464c:
	.byte	0                               ; 0x0
	.size	__hip_cuid_43fa574f5505464c, 1

	.ident	"AMD clang version 19.0.0git (https://github.com/RadeonOpenCompute/llvm-project roc-6.4.0 25133 c7fe45cf4b819c5991fe208aaa96edf142730f1d)"
	.section	".note.GNU-stack","",@progbits
	.addrsig
	.addrsig_sym __hip_cuid_43fa574f5505464c
	.amdgpu_metadata
---
amdhsa.kernels:
  - .args:
      - .actual_access:  read_only
        .address_space:  global
        .offset:         0
        .size:           8
        .value_kind:     global_buffer
      - .actual_access:  read_only
        .address_space:  global
        .offset:         8
        .size:           8
        .value_kind:     global_buffer
      - .actual_access:  read_only
        .address_space:  global
        .offset:         16
        .size:           8
        .value_kind:     global_buffer
      - .actual_access:  read_only
        .address_space:  global
        .offset:         24
        .size:           8
        .value_kind:     global_buffer
      - .actual_access:  read_only
        .address_space:  global
        .offset:         32
        .size:           8
        .value_kind:     global_buffer
      - .offset:         40
        .size:           8
        .value_kind:     by_value
      - .address_space:  global
        .offset:         48
        .size:           8
        .value_kind:     global_buffer
      - .address_space:  global
        .offset:         56
        .size:           8
        .value_kind:     global_buffer
      - .address_space:  global
        .offset:         64
        .size:           8
        .value_kind:     global_buffer
      - .address_space:  global
        .offset:         72
        .size:           8
        .value_kind:     global_buffer
      - .offset:         80
        .size:           4
        .value_kind:     by_value
      - .address_space:  global
        .offset:         88
        .size:           8
        .value_kind:     global_buffer
      - .address_space:  global
        .offset:         96
        .size:           8
        .value_kind:     global_buffer
    .group_segment_fixed_size: 5100
    .kernarg_segment_align: 8
    .kernarg_segment_size: 104
    .language:       OpenCL C
    .language_version:
      - 2
      - 0
    .max_flat_workgroup_size: 255
    .name:           bluestein_single_fwd_len85_dim1_half_op_CI_CI
    .private_segment_fixed_size: 0
    .sgpr_count:     39
    .sgpr_spill_count: 0
    .symbol:         bluestein_single_fwd_len85_dim1_half_op_CI_CI.kd
    .uniform_work_group_size: 1
    .uses_dynamic_stack: false
    .vgpr_count:     207
    .vgpr_spill_count: 0
    .wavefront_size: 64
amdhsa.target:   amdgcn-amd-amdhsa--gfx906
amdhsa.version:
  - 1
  - 2
...

	.end_amdgpu_metadata
